;; amdgpu-corpus repo=ROCm/rocFFT kind=compiled arch=gfx950 opt=O3
	.text
	.amdgcn_target "amdgcn-amd-amdhsa--gfx950"
	.amdhsa_code_object_version 6
	.protected	fft_rtc_back_len1870_factors_17_10_11_wgs_187_tpt_187_halfLds_dp_op_CI_CI_unitstride_sbrr_C2R_dirReg ; -- Begin function fft_rtc_back_len1870_factors_17_10_11_wgs_187_tpt_187_halfLds_dp_op_CI_CI_unitstride_sbrr_C2R_dirReg
	.globl	fft_rtc_back_len1870_factors_17_10_11_wgs_187_tpt_187_halfLds_dp_op_CI_CI_unitstride_sbrr_C2R_dirReg
	.p2align	8
	.type	fft_rtc_back_len1870_factors_17_10_11_wgs_187_tpt_187_halfLds_dp_op_CI_CI_unitstride_sbrr_C2R_dirReg,@function
fft_rtc_back_len1870_factors_17_10_11_wgs_187_tpt_187_halfLds_dp_op_CI_CI_unitstride_sbrr_C2R_dirReg: ; @fft_rtc_back_len1870_factors_17_10_11_wgs_187_tpt_187_halfLds_dp_op_CI_CI_unitstride_sbrr_C2R_dirReg
; %bb.0:
	s_load_dwordx4 s[4:7], s[0:1], 0x58
	s_load_dwordx4 s[8:11], s[0:1], 0x0
	;; [unrolled: 1-line block ×3, first 2 shown]
	v_mul_u32_u24_e32 v1, 0x15f, v0
	v_add_u32_sdwa v6, s2, v1 dst_sel:DWORD dst_unused:UNUSED_PAD src0_sel:DWORD src1_sel:WORD_1
	v_mov_b32_e32 v4, 0
	s_waitcnt lgkmcnt(0)
	v_cmp_lt_u64_e64 s[2:3], s[10:11], 2
	v_mov_b32_e32 v7, v4
	s_and_b64 vcc, exec, s[2:3]
	v_mov_b64_e32 v[2:3], 0
	s_cbranch_vccnz .LBB0_8
; %bb.1:
	s_load_dwordx2 s[2:3], s[0:1], 0x10
	s_add_u32 s16, s14, 8
	s_addc_u32 s17, s15, 0
	s_add_u32 s18, s12, 8
	s_addc_u32 s19, s13, 0
	s_waitcnt lgkmcnt(0)
	s_add_u32 s20, s2, 8
	v_mov_b64_e32 v[2:3], 0
	s_addc_u32 s21, s3, 0
	s_mov_b64 s[22:23], 1
	v_mov_b64_e32 v[120:121], v[2:3]
.LBB0_2:                                ; =>This Inner Loop Header: Depth=1
	s_load_dwordx2 s[24:25], s[20:21], 0x0
                                        ; implicit-def: $vgpr122_vgpr123
	s_waitcnt lgkmcnt(0)
	v_or_b32_e32 v5, s25, v7
	v_cmp_ne_u64_e32 vcc, 0, v[4:5]
	s_and_saveexec_b64 s[2:3], vcc
	s_xor_b64 s[26:27], exec, s[2:3]
	s_cbranch_execz .LBB0_4
; %bb.3:                                ;   in Loop: Header=BB0_2 Depth=1
	v_cvt_f32_u32_e32 v1, s24
	v_cvt_f32_u32_e32 v5, s25
	s_sub_u32 s2, 0, s24
	s_subb_u32 s3, 0, s25
	v_fmac_f32_e32 v1, 0x4f800000, v5
	v_rcp_f32_e32 v1, v1
	s_nop 0
	v_mul_f32_e32 v1, 0x5f7ffffc, v1
	v_mul_f32_e32 v5, 0x2f800000, v1
	v_trunc_f32_e32 v5, v5
	v_fmac_f32_e32 v1, 0xcf800000, v5
	v_cvt_u32_f32_e32 v5, v5
	v_cvt_u32_f32_e32 v1, v1
	v_mul_lo_u32 v8, s2, v5
	v_mul_hi_u32 v10, s2, v1
	v_mul_lo_u32 v9, s3, v1
	v_add_u32_e32 v10, v10, v8
	v_mul_lo_u32 v12, s2, v1
	v_add_u32_e32 v13, v10, v9
	v_mul_hi_u32 v8, v1, v12
	v_mul_hi_u32 v11, v1, v13
	v_mul_lo_u32 v10, v1, v13
	v_mov_b32_e32 v9, v4
	v_lshl_add_u64 v[8:9], v[8:9], 0, v[10:11]
	v_mul_hi_u32 v11, v5, v12
	v_mul_lo_u32 v12, v5, v12
	v_add_co_u32_e32 v8, vcc, v8, v12
	v_mul_hi_u32 v10, v5, v13
	s_nop 0
	v_addc_co_u32_e32 v8, vcc, v9, v11, vcc
	v_mov_b32_e32 v9, v4
	s_nop 0
	v_addc_co_u32_e32 v11, vcc, 0, v10, vcc
	v_mul_lo_u32 v10, v5, v13
	v_lshl_add_u64 v[8:9], v[8:9], 0, v[10:11]
	v_add_co_u32_e32 v1, vcc, v1, v8
	v_mul_lo_u32 v10, s2, v1
	s_nop 0
	v_addc_co_u32_e32 v5, vcc, v5, v9, vcc
	v_mul_lo_u32 v8, s2, v5
	v_mul_hi_u32 v9, s2, v1
	v_add_u32_e32 v8, v9, v8
	v_mul_lo_u32 v9, s3, v1
	v_add_u32_e32 v12, v8, v9
	v_mul_hi_u32 v14, v5, v10
	v_mul_lo_u32 v15, v5, v10
	v_mul_hi_u32 v9, v1, v12
	v_mul_lo_u32 v8, v1, v12
	v_mul_hi_u32 v10, v1, v10
	v_mov_b32_e32 v11, v4
	v_lshl_add_u64 v[8:9], v[10:11], 0, v[8:9]
	v_add_co_u32_e32 v8, vcc, v8, v15
	v_mul_hi_u32 v13, v5, v12
	s_nop 0
	v_addc_co_u32_e32 v8, vcc, v9, v14, vcc
	v_mul_lo_u32 v10, v5, v12
	s_nop 0
	v_addc_co_u32_e32 v11, vcc, 0, v13, vcc
	v_mov_b32_e32 v9, v4
	v_lshl_add_u64 v[8:9], v[8:9], 0, v[10:11]
	v_add_co_u32_e32 v1, vcc, v1, v8
	v_mul_hi_u32 v10, v6, v1
	s_nop 0
	v_addc_co_u32_e32 v5, vcc, v5, v9, vcc
	v_mad_u64_u32 v[8:9], s[2:3], v6, v5, 0
	v_mov_b32_e32 v11, v4
	v_lshl_add_u64 v[8:9], v[10:11], 0, v[8:9]
	v_mad_u64_u32 v[12:13], s[2:3], v7, v1, 0
	v_add_co_u32_e32 v1, vcc, v8, v12
	v_mad_u64_u32 v[10:11], s[2:3], v7, v5, 0
	s_nop 0
	v_addc_co_u32_e32 v8, vcc, v9, v13, vcc
	v_mov_b32_e32 v9, v4
	s_nop 0
	v_addc_co_u32_e32 v11, vcc, 0, v11, vcc
	v_lshl_add_u64 v[8:9], v[8:9], 0, v[10:11]
	v_mul_lo_u32 v1, s25, v8
	v_mul_lo_u32 v5, s24, v9
	v_mad_u64_u32 v[10:11], s[2:3], s24, v8, 0
	v_add3_u32 v1, v11, v5, v1
	v_sub_u32_e32 v5, v7, v1
	v_mov_b32_e32 v11, s25
	v_sub_co_u32_e32 v14, vcc, v6, v10
	v_lshl_add_u64 v[12:13], v[8:9], 0, 1
	s_nop 0
	v_subb_co_u32_e64 v5, s[2:3], v5, v11, vcc
	v_subrev_co_u32_e64 v10, s[2:3], s24, v14
	v_subb_co_u32_e32 v1, vcc, v7, v1, vcc
	s_nop 0
	v_subbrev_co_u32_e64 v5, s[2:3], 0, v5, s[2:3]
	v_cmp_le_u32_e64 s[2:3], s25, v5
	v_cmp_le_u32_e32 vcc, s25, v1
	s_nop 0
	v_cndmask_b32_e64 v11, 0, -1, s[2:3]
	v_cmp_le_u32_e64 s[2:3], s24, v10
	s_nop 1
	v_cndmask_b32_e64 v10, 0, -1, s[2:3]
	v_cmp_eq_u32_e64 s[2:3], s25, v5
	s_nop 1
	v_cndmask_b32_e64 v5, v11, v10, s[2:3]
	v_lshl_add_u64 v[10:11], v[8:9], 0, 2
	v_cmp_ne_u32_e64 s[2:3], 0, v5
	s_nop 1
	v_cndmask_b32_e64 v5, v13, v11, s[2:3]
	v_cndmask_b32_e64 v11, 0, -1, vcc
	v_cmp_le_u32_e32 vcc, s24, v14
	s_nop 1
	v_cndmask_b32_e64 v13, 0, -1, vcc
	v_cmp_eq_u32_e32 vcc, s25, v1
	s_nop 1
	v_cndmask_b32_e32 v1, v11, v13, vcc
	v_cmp_ne_u32_e32 vcc, 0, v1
	v_cndmask_b32_e64 v1, v12, v10, s[2:3]
	s_nop 0
	v_cndmask_b32_e32 v123, v9, v5, vcc
	v_cndmask_b32_e32 v122, v8, v1, vcc
.LBB0_4:                                ;   in Loop: Header=BB0_2 Depth=1
	s_andn2_saveexec_b64 s[2:3], s[26:27]
	s_cbranch_execz .LBB0_6
; %bb.5:                                ;   in Loop: Header=BB0_2 Depth=1
	v_cvt_f32_u32_e32 v1, s24
	s_sub_i32 s26, 0, s24
	v_mov_b32_e32 v123, v4
	v_rcp_iflag_f32_e32 v1, v1
	s_nop 0
	v_mul_f32_e32 v1, 0x4f7ffffe, v1
	v_cvt_u32_f32_e32 v1, v1
	v_mul_lo_u32 v5, s26, v1
	v_mul_hi_u32 v5, v1, v5
	v_add_u32_e32 v1, v1, v5
	v_mul_hi_u32 v1, v6, v1
	v_mul_lo_u32 v5, v1, s24
	v_sub_u32_e32 v5, v6, v5
	v_add_u32_e32 v8, 1, v1
	v_subrev_u32_e32 v9, s24, v5
	v_cmp_le_u32_e32 vcc, s24, v5
	s_nop 1
	v_cndmask_b32_e32 v5, v5, v9, vcc
	v_cndmask_b32_e32 v1, v1, v8, vcc
	v_add_u32_e32 v8, 1, v1
	v_cmp_le_u32_e32 vcc, s24, v5
	s_nop 1
	v_cndmask_b32_e32 v122, v1, v8, vcc
.LBB0_6:                                ;   in Loop: Header=BB0_2 Depth=1
	s_or_b64 exec, exec, s[2:3]
	v_mad_u64_u32 v[8:9], s[2:3], v122, s24, 0
	s_load_dwordx2 s[2:3], s[18:19], 0x0
	v_mul_lo_u32 v1, v123, s24
	v_mul_lo_u32 v5, v122, s25
	s_load_dwordx2 s[24:25], s[16:17], 0x0
	s_add_u32 s22, s22, 1
	v_add3_u32 v1, v9, v5, v1
	v_sub_co_u32_e32 v5, vcc, v6, v8
	s_addc_u32 s23, s23, 0
	s_nop 0
	v_subb_co_u32_e32 v1, vcc, v7, v1, vcc
	s_add_u32 s16, s16, 8
	s_waitcnt lgkmcnt(0)
	v_mul_lo_u32 v6, s2, v1
	v_mul_lo_u32 v7, s3, v5
	v_mad_u64_u32 v[2:3], s[2:3], s2, v5, v[2:3]
	s_addc_u32 s17, s17, 0
	v_add3_u32 v3, v7, v3, v6
	v_mul_lo_u32 v1, s24, v1
	v_mul_lo_u32 v6, s25, v5
	v_mad_u64_u32 v[120:121], s[2:3], s24, v5, v[120:121]
	s_add_u32 s18, s18, 8
	v_add3_u32 v121, v6, v121, v1
	s_addc_u32 s19, s19, 0
	v_mov_b64_e32 v[6:7], s[10:11]
	s_add_u32 s20, s20, 8
	v_cmp_ge_u64_e32 vcc, s[22:23], v[6:7]
	s_addc_u32 s21, s21, 0
	s_cbranch_vccnz .LBB0_9
; %bb.7:                                ;   in Loop: Header=BB0_2 Depth=1
	v_mov_b64_e32 v[6:7], v[122:123]
	s_branch .LBB0_2
.LBB0_8:
	v_mov_b64_e32 v[120:121], v[2:3]
	v_mov_b64_e32 v[122:123], v[6:7]
.LBB0_9:
	s_load_dwordx2 s[18:19], s[0:1], 0x28
	s_lshl_b64 s[16:17], s[10:11], 3
	s_add_u32 s2, s14, s16
	s_addc_u32 s3, s15, s17
                                        ; implicit-def: $vgpr124
	s_waitcnt lgkmcnt(0)
	v_cmp_gt_u64_e64 s[0:1], s[18:19], v[122:123]
	v_cmp_le_u64_e32 vcc, s[18:19], v[122:123]
	s_and_saveexec_b64 s[10:11], vcc
	s_xor_b64 s[10:11], exec, s[10:11]
; %bb.10:
	s_mov_b32 s14, 0x15e75bc
	v_mul_hi_u32 v1, v0, s14
	v_mul_u32_u24_e32 v1, 0xbb, v1
	v_sub_u32_e32 v124, v0, v1
                                        ; implicit-def: $vgpr0
                                        ; implicit-def: $vgpr2_vgpr3
; %bb.11:
	s_or_saveexec_b64 s[10:11], s[10:11]
	s_load_dwordx2 s[2:3], s[2:3], 0x0
	s_xor_b64 exec, exec, s[10:11]
	s_cbranch_execz .LBB0_15
; %bb.12:
	s_add_u32 s12, s12, s16
	s_addc_u32 s13, s13, s17
	s_load_dwordx2 s[12:13], s[12:13], 0x0
	s_mov_b32 s14, 0x15e75bc
	s_waitcnt lgkmcnt(0)
	v_mul_lo_u32 v1, s13, v122
	v_mul_lo_u32 v6, s12, v123
	v_mad_u64_u32 v[4:5], s[12:13], s12, v122, 0
	v_add3_u32 v5, v5, v6, v1
	v_mul_hi_u32 v1, v0, s14
	v_mul_u32_u24_e32 v1, 0xbb, v1
	v_sub_u32_e32 v124, v0, v1
	v_lshl_add_u64 v[0:1], v[4:5], 4, s[4:5]
	v_lshl_add_u64 v[2:3], v[2:3], 4, v[0:1]
	v_lshlrev_b32_e32 v0, 4, v124
	v_mov_b32_e32 v1, 0
	v_lshl_add_u64 v[36:37], v[2:3], 0, v[0:1]
	s_movk_i32 s4, 0x1000
	v_add_co_u32_e32 v20, vcc, s4, v36
	s_movk_i32 s4, 0x2000
	s_nop 0
	v_addc_co_u32_e32 v21, vcc, 0, v37, vcc
	v_add_co_u32_e32 v28, vcc, s4, v36
	s_movk_i32 s4, 0x3000
	s_nop 0
	v_addc_co_u32_e32 v29, vcc, 0, v37, vcc
	;; [unrolled: 4-line block ×4, first 2 shown]
	v_add_co_u32_e32 v44, vcc, s4, v36
	global_load_dwordx4 v[4:7], v[36:37], off
	global_load_dwordx4 v[8:11], v[36:37], off offset:2992
	v_addc_co_u32_e32 v45, vcc, 0, v37, vcc
	v_add_co_u32_e32 v46, vcc, 0x6000, v36
	global_load_dwordx4 v[12:15], v[20:21], off offset:1888
	global_load_dwordx4 v[16:19], v[28:29], off offset:784
	s_nop 0
	global_load_dwordx4 v[20:23], v[28:29], off offset:3776
	global_load_dwordx4 v[24:27], v[30:31], off offset:2672
	s_nop 0
	global_load_dwordx4 v[28:31], v[38:39], off offset:1568
	global_load_dwordx4 v[32:35], v[44:45], off offset:464
	v_addc_co_u32_e32 v47, vcc, 0, v37, vcc
	global_load_dwordx4 v[36:39], v[44:45], off offset:3456
	global_load_dwordx4 v[40:43], v[46:47], off offset:2352
	s_movk_i32 s4, 0xba
	v_add_u32_e32 v0, 0, v0
	v_cmp_eq_u32_e32 vcc, s4, v124
	s_waitcnt vmcnt(9)
	ds_write_b128 v0, v[4:7]
	s_waitcnt vmcnt(8)
	ds_write_b128 v0, v[8:11] offset:2992
	s_waitcnt vmcnt(7)
	ds_write_b128 v0, v[12:15] offset:5984
	s_waitcnt vmcnt(6)
	ds_write_b128 v0, v[16:19] offset:8976
	s_waitcnt vmcnt(5)
	ds_write_b128 v0, v[20:23] offset:11968
	s_waitcnt vmcnt(4)
	ds_write_b128 v0, v[24:27] offset:14960
	s_waitcnt vmcnt(3)
	ds_write_b128 v0, v[28:31] offset:17952
	s_waitcnt vmcnt(2)
	ds_write_b128 v0, v[32:35] offset:20944
	s_waitcnt vmcnt(1)
	ds_write_b128 v0, v[36:39] offset:23936
	s_waitcnt vmcnt(0)
	ds_write_b128 v0, v[40:43] offset:26928
	s_and_saveexec_b64 s[4:5], vcc
	s_cbranch_execz .LBB0_14
; %bb.13:
	v_add_co_u32_e32 v2, vcc, 0x7000, v2
	v_mov_b32_e32 v124, 0xba
	s_nop 0
	v_addc_co_u32_e32 v3, vcc, 0, v3, vcc
	global_load_dwordx4 v[2:5], v[2:3], off offset:1248
	s_waitcnt vmcnt(0)
	ds_write_b128 v1, v[2:5] offset:29920
.LBB0_14:
	s_or_b64 exec, exec, s[4:5]
.LBB0_15:
	s_or_b64 exec, exec, s[10:11]
	v_lshlrev_b32_e32 v0, 4, v124
	v_add_u32_e32 v190, 0, v0
	s_waitcnt lgkmcnt(0)
	s_barrier
	v_sub_u32_e32 v12, 0, v0
	ds_read_b64 v[2:3], v190
	ds_read_b64 v[4:5], v12 offset:29920
	s_add_u32 s4, s8, 0x73d0
	s_addc_u32 s5, s9, 0
	v_cmp_ne_u32_e32 vcc, 0, v124
                                        ; implicit-def: $vgpr0_vgpr1
	s_waitcnt lgkmcnt(0)
	v_add_f64 v[8:9], v[2:3], v[4:5]
	v_add_f64 v[10:11], v[2:3], -v[4:5]
	s_and_saveexec_b64 s[10:11], vcc
	s_xor_b64 s[10:11], exec, s[10:11]
	s_cbranch_execz .LBB0_17
; %bb.16:
	v_mov_b32_e32 v125, 0
	v_lshl_add_u64 v[0:1], v[124:125], 4, s[4:5]
	global_load_dwordx4 v[6:9], v[0:1], off
	ds_read_b64 v[0:1], v12 offset:29928
	ds_read_b64 v[10:11], v190 offset:8
	v_add_f64 v[14:15], v[2:3], v[4:5]
	v_add_f64 v[4:5], v[2:3], -v[4:5]
	s_waitcnt lgkmcnt(0)
	v_add_f64 v[16:17], v[0:1], v[10:11]
	v_add_f64 v[2:3], v[10:11], -v[0:1]
	s_waitcnt vmcnt(0)
	v_fma_f64 v[10:11], v[16:17], v[8:9], v[2:3]
	v_fma_f64 v[0:1], -v[4:5], v[8:9], v[14:15]
	v_fma_f64 v[2:3], v[16:17], v[8:9], -v[2:3]
	v_fma_f64 v[18:19], v[4:5], v[8:9], v[14:15]
	v_fmac_f64_e32 v[0:1], v[16:17], v[6:7]
	v_fmac_f64_e32 v[2:3], v[4:5], v[6:7]
	v_fma_f64 v[8:9], -v[16:17], v[6:7], v[18:19]
	v_fmac_f64_e32 v[10:11], v[4:5], v[6:7]
	ds_write_b128 v12, v[0:3] offset:29920
	v_mov_b64_e32 v[0:1], v[124:125]
.LBB0_17:
	s_andn2_saveexec_b64 s[10:11], s[10:11]
	s_cbranch_execz .LBB0_19
; %bb.18:
	v_mov_b32_e32 v4, 0
	ds_read_b128 v[0:3], v4 offset:14960
	s_waitcnt lgkmcnt(0)
	v_add_f64 v[0:1], v[0:1], v[0:1]
	v_mul_f64 v[2:3], v[2:3], -2.0
	ds_write_b128 v4, v[0:3] offset:14960
	v_mov_b64_e32 v[0:1], 0
.LBB0_19:
	s_or_b64 exec, exec, s[10:11]
	v_lshl_add_u64 v[0:1], v[0:1], 4, s[4:5]
	global_load_dwordx4 v[14:17], v[0:1], off offset:2992
	s_movk_i32 s4, 0x1000
	v_add_co_u32_e32 v2, vcc, s4, v0
	s_movk_i32 s4, 0x2000
	s_nop 0
	v_addc_co_u32_e32 v3, vcc, 0, v1, vcc
	global_load_dwordx4 v[18:21], v[2:3], off offset:1888
	v_add_co_u32_e32 v22, vcc, s4, v0
	s_mov_b32 s12, 0x4363dd80
	s_nop 0
	v_addc_co_u32_e32 v23, vcc, 0, v1, vcc
	global_load_dwordx4 v[0:3], v[22:23], off offset:784
	global_load_dwordx4 v[4:7], v[22:23], off offset:3776
	ds_write_b128 v190, v[8:11]
	ds_read_b128 v[8:11], v190 offset:2992
	ds_read_b128 v[22:25], v12 offset:26928
	s_mov_b32 s4, 0x910ea3b9
	s_mov_b32 s13, 0xbfe0d888
	;; [unrolled: 1-line block ×4, first 2 shown]
	s_waitcnt lgkmcnt(0)
	v_add_f64 v[26:27], v[8:9], v[22:23]
	v_add_f64 v[28:29], v[24:25], v[10:11]
	v_add_f64 v[30:31], v[8:9], -v[22:23]
	v_add_f64 v[8:9], v[10:11], -v[24:25]
	s_mov_b32 s10, 0x2b2883cd
	s_mov_b32 s25, 0x3feca52d
	;; [unrolled: 1-line block ×27, first 2 shown]
	s_movk_i32 s20, 0x6e
	v_cmp_gt_u32_e32 vcc, s20, v124
	s_waitcnt vmcnt(3)
	v_fma_f64 v[32:33], v[30:31], v[16:17], v[26:27]
	v_fma_f64 v[10:11], v[28:29], v[16:17], v[8:9]
	v_fma_f64 v[22:23], -v[30:31], v[16:17], v[26:27]
	v_fma_f64 v[24:25], v[28:29], v[16:17], -v[8:9]
	v_fma_f64 v[8:9], -v[28:29], v[14:15], v[32:33]
	v_fmac_f64_e32 v[10:11], v[30:31], v[14:15]
	v_fmac_f64_e32 v[22:23], v[28:29], v[14:15]
	v_fmac_f64_e32 v[24:25], v[30:31], v[14:15]
	ds_write_b128 v190, v[8:11] offset:2992
	ds_write_b128 v12, v[22:25] offset:26928
	ds_read_b128 v[8:11], v190 offset:5984
	ds_read_b128 v[14:17], v12 offset:23936
	s_waitcnt lgkmcnt(0)
	v_add_f64 v[22:23], v[8:9], v[14:15]
	v_add_f64 v[24:25], v[16:17], v[10:11]
	v_add_f64 v[26:27], v[8:9], -v[14:15]
	v_add_f64 v[8:9], v[10:11], -v[16:17]
	s_waitcnt vmcnt(2)
	v_fma_f64 v[28:29], v[26:27], v[20:21], v[22:23]
	v_fma_f64 v[10:11], v[24:25], v[20:21], v[8:9]
	v_fma_f64 v[14:15], -v[26:27], v[20:21], v[22:23]
	v_fma_f64 v[16:17], v[24:25], v[20:21], -v[8:9]
	v_fma_f64 v[8:9], -v[24:25], v[18:19], v[28:29]
	v_fmac_f64_e32 v[10:11], v[26:27], v[18:19]
	v_fmac_f64_e32 v[14:15], v[24:25], v[18:19]
	v_fmac_f64_e32 v[16:17], v[26:27], v[18:19]
	ds_write_b128 v190, v[8:11] offset:5984
	ds_write_b128 v12, v[14:17] offset:23936
	ds_read_b128 v[8:11], v190 offset:8976
	ds_read_b128 v[14:17], v12 offset:20944
	s_waitcnt lgkmcnt(0)
	v_add_f64 v[18:19], v[8:9], v[14:15]
	v_add_f64 v[20:21], v[16:17], v[10:11]
	v_add_f64 v[22:23], v[8:9], -v[14:15]
	v_add_f64 v[8:9], v[10:11], -v[16:17]
	;; [unrolled: 18-line block ×3, first 2 shown]
	s_waitcnt vmcnt(0)
	v_fma_f64 v[20:21], v[18:19], v[6:7], v[14:15]
	v_fma_f64 v[2:3], v[16:17], v[6:7], v[0:1]
	v_fma_f64 v[8:9], -v[18:19], v[6:7], v[14:15]
	v_fma_f64 v[10:11], v[16:17], v[6:7], -v[0:1]
	v_fma_f64 v[0:1], -v[16:17], v[4:5], v[20:21]
	v_fmac_f64_e32 v[2:3], v[18:19], v[4:5]
	v_fmac_f64_e32 v[8:9], v[16:17], v[4:5]
	;; [unrolled: 1-line block ×3, first 2 shown]
	ds_write_b128 v190, v[0:3] offset:11968
	ds_write_b128 v12, v[8:11] offset:17952
	s_waitcnt lgkmcnt(0)
	s_barrier
	s_barrier
	ds_read_b128 v[4:7], v190 offset:28160
	ds_read_b128 v[12:15], v190 offset:1760
	ds_read_b128 v[16:19], v190
	ds_read_b128 v[20:23], v190 offset:3520
	ds_read_b128 v[24:27], v190 offset:5280
	;; [unrolled: 1-line block ×4, first 2 shown]
	s_waitcnt lgkmcnt(5)
	v_add_f64 v[136:137], v[14:15], -v[6:7]
	v_add_f64 v[126:127], v[12:13], v[4:5]
	v_add_f64 v[130:131], v[14:15], v[6:7]
	s_waitcnt lgkmcnt(1)
	v_add_f64 v[138:139], v[22:23], -v[10:11]
	v_mul_f64 v[80:81], v[136:137], s[12:13]
	v_add_f64 v[142:143], v[12:13], -v[4:5]
	v_add_f64 v[128:129], v[20:21], v[8:9]
	v_add_f64 v[134:135], v[22:23], v[10:11]
	v_mul_f64 v[82:83], v[130:131], s[4:5]
	v_mul_f64 v[84:85], v[138:139], s[24:25]
	v_fma_f64 v[0:1], v[126:127], s[4:5], -v[80:81]
	s_waitcnt lgkmcnt(0)
	v_add_f64 v[144:145], v[26:27], -v[30:31]
	v_add_f64 v[146:147], v[20:21], -v[8:9]
	v_mul_f64 v[86:87], v[134:135], s[10:11]
	v_fma_f64 v[2:3], s[12:13], v[142:143], v[82:83]
	v_fma_f64 v[32:33], v[128:129], s[10:11], -v[84:85]
	v_add_f64 v[0:1], v[16:17], v[0:1]
	v_add_f64 v[132:133], v[24:25], v[28:29]
	v_mul_f64 v[88:89], v[144:145], s[18:19]
	v_add_f64 v[140:141], v[26:27], v[30:31]
	v_fma_f64 v[34:35], s[24:25], v[146:147], v[86:87]
	v_add_f64 v[2:3], v[18:19], v[2:3]
	v_add_f64 v[0:1], v[32:33], v[0:1]
	v_fma_f64 v[32:33], v[132:133], s[14:15], -v[88:89]
	v_add_f64 v[152:153], v[24:25], -v[28:29]
	v_mul_f64 v[90:91], v[140:141], s[14:15]
	v_add_f64 v[2:3], v[34:35], v[2:3]
	v_add_f64 v[0:1], v[32:33], v[0:1]
	v_fma_f64 v[32:33], s[18:19], v[152:153], v[90:91]
	v_add_f64 v[2:3], v[32:33], v[2:3]
	ds_read_b128 v[32:35], v190 offset:22880
	ds_read_b128 v[36:39], v190 offset:7040
	;; [unrolled: 1-line block ×5, first 2 shown]
	s_waitcnt lgkmcnt(3)
	v_add_f64 v[156:157], v[38:39], -v[34:35]
	v_add_f64 v[148:149], v[36:37], v[32:33]
	v_mul_f64 v[92:93], v[156:157], s[42:43]
	v_add_f64 v[154:155], v[38:39], v[34:35]
	v_fma_f64 v[48:49], v[148:149], s[16:17], -v[92:93]
	v_add_f64 v[164:165], v[36:37], -v[32:33]
	v_mul_f64 v[96:97], v[154:155], s[16:17]
	s_waitcnt lgkmcnt(1)
	v_add_f64 v[160:161], v[42:43], -v[46:47]
	v_add_f64 v[0:1], v[48:49], v[0:1]
	v_fma_f64 v[48:49], s[42:43], v[164:165], v[96:97]
	v_add_f64 v[150:151], v[40:41], v[44:45]
	v_mul_f64 v[94:95], v[160:161], s[28:29]
	v_add_f64 v[158:159], v[42:43], v[46:47]
	v_add_f64 v[2:3], v[48:49], v[2:3]
	v_fma_f64 v[48:49], v[150:151], s[22:23], -v[94:95]
	v_add_f64 v[170:171], v[40:41], -v[44:45]
	v_mul_f64 v[98:99], v[158:159], s[22:23]
	v_add_f64 v[0:1], v[48:49], v[0:1]
	v_fma_f64 v[48:49], s[28:29], v[170:171], v[98:99]
	v_add_f64 v[2:3], v[48:49], v[2:3]
	ds_read_b128 v[48:51], v190 offset:19360
	ds_read_b128 v[56:59], v190 offset:12320
	;; [unrolled: 1-line block ×3, first 2 shown]
	s_waitcnt lgkmcnt(2)
	v_add_f64 v[174:175], v[54:55], -v[50:51]
	v_add_f64 v[162:163], v[52:53], v[48:49]
	v_mul_f64 v[100:101], v[174:175], s[34:35]
	v_add_f64 v[168:169], v[54:55], v[50:51]
	v_fma_f64 v[64:65], v[162:163], s[26:27], -v[100:101]
	v_add_f64 v[180:181], v[52:53], -v[48:49]
	v_mul_f64 v[104:105], v[168:169], s[26:27]
	s_waitcnt lgkmcnt(0)
	v_add_f64 v[178:179], v[58:59], -v[62:63]
	v_add_f64 v[0:1], v[64:65], v[0:1]
	v_fma_f64 v[64:65], s[34:35], v[180:181], v[104:105]
	v_add_f64 v[166:167], v[56:57], v[60:61]
	v_mul_f64 v[102:103], v[178:179], s[44:45]
	v_add_f64 v[176:177], v[58:59], v[62:63]
	v_add_f64 v[2:3], v[64:65], v[2:3]
	v_fma_f64 v[64:65], v[166:167], s[30:31], -v[102:103]
	v_add_f64 v[186:187], v[56:57], -v[60:61]
	v_mul_f64 v[106:107], v[176:177], s[30:31]
	v_add_f64 v[0:1], v[64:65], v[0:1]
	v_fma_f64 v[64:65], s[44:45], v[186:187], v[106:107]
	v_add_f64 v[2:3], v[64:65], v[2:3]
	ds_read_b128 v[64:67], v190 offset:14080
	ds_read_b128 v[68:71], v190 offset:15840
	s_waitcnt lgkmcnt(0)
	s_barrier
	v_add_f64 v[184:185], v[66:67], -v[70:71]
	v_add_f64 v[172:173], v[64:65], v[68:69]
	v_mul_f64 v[108:109], v[184:185], s[38:39]
	v_add_f64 v[182:183], v[66:67], v[70:71]
	v_fma_f64 v[72:73], v[172:173], s[36:37], -v[108:109]
	v_add_f64 v[188:189], v[64:65], -v[68:69]
	v_mul_f64 v[110:111], v[182:183], s[36:37]
	v_add_f64 v[0:1], v[72:73], v[0:1]
	v_fma_f64 v[72:73], s[38:39], v[188:189], v[110:111]
	v_add_f64 v[2:3], v[72:73], v[2:3]
	s_and_saveexec_b64 s[20:21], vcc
	s_cbranch_execz .LBB0_21
; %bb.20:
	v_mul_f64 v[114:115], v[142:143], s[12:13]
	v_mul_f64 v[118:119], v[146:147], s[24:25]
	v_add_f64 v[82:83], v[82:83], -v[114:115]
	v_mul_f64 v[194:195], v[152:153], s[18:19]
	v_add_f64 v[86:87], v[86:87], -v[118:119]
	v_add_f64 v[82:83], v[18:19], v[82:83]
	v_mul_f64 v[198:199], v[164:165], s[42:43]
	v_add_f64 v[90:91], v[90:91], -v[194:195]
	v_add_f64 v[82:83], v[86:87], v[82:83]
	v_mul_f64 v[112:113], v[126:127], s[4:5]
	v_mul_f64 v[202:203], v[170:171], s[28:29]
	v_add_f64 v[96:97], v[96:97], -v[198:199]
	v_add_f64 v[82:83], v[90:91], v[82:83]
	v_mul_f64 v[116:117], v[128:129], s[10:11]
	v_mul_f64 v[206:207], v[180:181], s[34:35]
	v_add_f64 v[98:99], v[98:99], -v[202:203]
	v_add_f64 v[82:83], v[96:97], v[82:83]
	v_add_f64 v[80:81], v[112:113], v[80:81]
	v_mul_f64 v[192:193], v[132:133], s[14:15]
	v_mul_f64 v[210:211], v[186:187], s[44:45]
	s_mov_b32 s41, 0xbfe9895b
	s_mov_b32 s40, s42
	v_add_f64 v[104:105], v[104:105], -v[206:207]
	v_add_f64 v[82:83], v[98:99], v[82:83]
	v_add_f64 v[84:85], v[116:117], v[84:85]
	;; [unrolled: 1-line block ×3, first 2 shown]
	v_mul_f64 v[196:197], v[148:149], s[16:17]
	v_mul_f64 v[212:213], v[172:173], s[36:37]
	;; [unrolled: 1-line block ×3, first 2 shown]
	v_add_f64 v[106:107], v[106:107], -v[210:211]
	v_add_f64 v[82:83], v[104:105], v[82:83]
	v_add_f64 v[88:89], v[192:193], v[88:89]
	;; [unrolled: 1-line block ×3, first 2 shown]
	s_mov_b32 s53, 0x3feec746
	s_mov_b32 s52, s38
	v_mul_f64 v[112:113], v[142:143], s[40:41]
	v_mul_f64 v[200:201], v[150:151], s[22:23]
	;; [unrolled: 1-line block ×3, first 2 shown]
	v_add_f64 v[110:111], v[110:111], -v[214:215]
	v_add_f64 v[82:83], v[106:107], v[82:83]
	v_add_f64 v[86:87], v[212:213], v[108:109]
	;; [unrolled: 1-line block ×4, first 2 shown]
	v_mul_f64 v[108:109], v[146:147], s[52:53]
	v_fma_f64 v[114:115], s[16:17], v[130:131], v[112:113]
	v_mul_f64 v[202:203], v[136:137], s[40:41]
	v_add_f64 v[82:83], v[110:111], v[82:83]
	v_add_f64 v[96:97], v[204:205], v[100:101]
	v_add_f64 v[94:95], v[200:201], v[94:95]
	v_add_f64 v[80:81], v[92:93], v[80:81]
	v_mul_f64 v[104:105], v[152:153], s[28:29]
	v_fma_f64 v[110:111], s[36:37], v[134:135], v[108:109]
	v_add_f64 v[114:115], v[18:19], v[114:115]
	v_mul_f64 v[198:199], v[138:139], s[52:53]
	v_fma_f64 v[204:205], v[126:127], s[16:17], -v[202:203]
	v_mul_f64 v[208:209], v[166:167], s[30:31]
	s_mov_b32 s57, 0x3fefdd0d
	s_mov_b32 s56, s18
	v_add_f64 v[80:81], v[94:95], v[80:81]
	v_mul_f64 v[100:101], v[164:165], s[12:13]
	v_fma_f64 v[106:107], s[22:23], v[140:141], v[104:105]
	v_add_f64 v[110:111], v[110:111], v[114:115]
	v_mul_f64 v[194:195], v[144:145], s[28:29]
	v_fma_f64 v[200:201], v[128:129], s[36:37], -v[198:199]
	v_add_f64 v[204:205], v[16:17], v[204:205]
	v_add_f64 v[90:91], v[208:209], v[102:103]
	;; [unrolled: 1-line block ×3, first 2 shown]
	s_mov_b32 s49, 0xbfe58eea
	s_mov_b32 s48, s44
	v_mul_f64 v[96:97], v[170:171], s[56:57]
	v_fma_f64 v[102:103], s[4:5], v[154:155], v[100:101]
	v_add_f64 v[106:107], v[106:107], v[110:111]
	v_mul_f64 v[118:119], v[156:157], s[12:13]
	v_fma_f64 v[196:197], v[132:133], s[22:23], -v[194:195]
	v_add_f64 v[200:201], v[200:201], v[204:205]
	v_mul_f64 v[92:93], v[180:181], s[48:49]
	v_fma_f64 v[98:99], s[14:15], v[158:159], v[96:97]
	v_add_f64 v[102:103], v[102:103], v[106:107]
	v_mul_f64 v[114:115], v[160:161], s[56:57]
	v_fma_f64 v[192:193], v[148:149], s[4:5], -v[118:119]
	v_add_f64 v[196:197], v[196:197], v[200:201]
	v_add_f64 v[80:81], v[90:91], v[80:81]
	v_mul_f64 v[90:91], v[186:187], s[34:35]
	v_fma_f64 v[94:95], s[30:31], v[168:169], v[92:93]
	v_add_f64 v[98:99], v[98:99], v[102:103]
	v_mul_f64 v[106:107], v[174:175], s[48:49]
	v_fma_f64 v[116:117], v[150:151], s[14:15], -v[114:115]
	v_add_f64 v[192:193], v[192:193], v[196:197]
	;; [unrolled: 7-line block ×3, first 2 shown]
	v_fma_f64 v[84:85], s[10:11], v[182:183], v[88:89]
	v_add_f64 v[86:87], v[86:87], v[94:95]
	v_mul_f64 v[94:95], v[184:185], s[24:25]
	v_fma_f64 v[102:103], v[166:167], s[26:27], -v[98:99]
	v_add_f64 v[110:111], v[110:111], v[116:117]
	v_add_f64 v[86:87], v[84:85], v[86:87]
	v_fma_f64 v[84:85], v[172:173], s[10:11], -v[94:95]
	v_add_f64 v[102:103], v[102:103], v[110:111]
	v_add_f64 v[84:85], v[84:85], v[102:103]
	v_fma_f64 v[102:103], v[140:141], s[22:23], -v[104:105]
	v_fma_f64 v[104:105], v[134:135], s[36:37], -v[108:109]
	;; [unrolled: 1-line block ×3, first 2 shown]
	v_add_f64 v[108:109], v[18:19], v[108:109]
	v_add_f64 v[104:105], v[104:105], v[108:109]
	v_fma_f64 v[100:101], v[154:155], s[4:5], -v[100:101]
	v_add_f64 v[102:103], v[102:103], v[104:105]
	s_mov_b32 s47, 0x3fd71e95
	s_mov_b32 s46, s28
	v_mul_f64 v[236:237], v[142:143], s[34:35]
	v_fma_f64 v[96:97], v[158:159], s[14:15], -v[96:97]
	v_add_f64 v[100:101], v[100:101], v[102:103]
	v_mul_f64 v[232:233], v[146:147], s[46:47]
	v_fma_f64 v[238:239], s[26:27], v[130:131], v[236:237]
	v_mul_f64 v[250:251], v[136:137], s[34:35]
	v_fma_f64 v[92:93], v[168:169], s[30:31], -v[92:93]
	v_add_f64 v[96:97], v[96:97], v[100:101]
	v_mul_f64 v[228:229], v[152:153], s[12:13]
	v_fma_f64 v[234:235], s[22:23], v[134:135], v[232:233]
	v_add_f64 v[238:239], v[18:19], v[238:239]
	v_mul_f64 v[246:247], v[138:139], s[46:47]
	v_fma_f64 v[252:253], v[126:127], s[26:27], -v[250:251]
	v_fma_f64 v[90:91], v[176:177], s[26:27], -v[90:91]
	v_add_f64 v[92:93], v[92:93], v[96:97]
	v_mul_f64 v[224:225], v[164:165], s[44:45]
	v_fma_f64 v[230:231], s[4:5], v[140:141], v[228:229]
	v_add_f64 v[234:235], v[234:235], v[238:239]
	v_mul_f64 v[244:245], v[144:145], s[12:13]
	v_fma_f64 v[248:249], v[128:129], s[22:23], -v[246:247]
	v_add_f64 v[252:253], v[16:17], v[252:253]
	v_fma_f64 v[88:89], v[182:183], s[10:11], -v[88:89]
	v_add_f64 v[90:91], v[90:91], v[92:93]
	v_fmac_f64_e32 v[202:203], s[16:17], v[126:127]
	v_mul_f64 v[220:221], v[170:171], s[40:41]
	v_fma_f64 v[226:227], s[30:31], v[154:155], v[224:225]
	v_add_f64 v[230:231], v[230:231], v[234:235]
	v_mul_f64 v[242:243], v[156:157], s[44:45]
	v_add_f64 v[248:249], v[248:249], v[252:253]
	v_fma_f64 v[252:253], v[132:133], s[4:5], -v[244:245]
	v_add_f64 v[90:91], v[88:89], v[90:91]
	v_fmac_f64_e32 v[198:199], s[36:37], v[128:129]
	v_add_f64 v[88:89], v[16:17], v[202:203]
	v_mul_f64 v[216:217], v[180:181], s[24:25]
	v_fma_f64 v[222:223], s[16:17], v[158:159], v[220:221]
	v_add_f64 v[226:227], v[226:227], v[230:231]
	v_mul_f64 v[238:239], v[160:161], s[40:41]
	v_add_f64 v[248:249], v[252:253], v[248:249]
	v_fma_f64 v[252:253], v[148:149], s[30:31], -v[242:243]
	v_fmac_f64_e32 v[194:195], s[22:23], v[132:133]
	v_add_f64 v[88:89], v[198:199], v[88:89]
	s_mov_b32 s55, 0x3fe0d888
	s_mov_b32 s54, s12
	v_mul_f64 v[192:193], v[142:143], s[38:39]
	v_mul_f64 v[78:79], v[186:187], s[38:39]
	v_fma_f64 v[218:219], s[10:11], v[168:169], v[216:217]
	v_add_f64 v[222:223], v[222:223], v[226:227]
	v_mul_f64 v[230:231], v[174:175], s[24:25]
	v_fma_f64 v[240:241], v[150:151], s[16:17], -v[238:239]
	v_add_f64 v[248:249], v[252:253], v[248:249]
	v_fmac_f64_e32 v[118:119], s[4:5], v[148:149]
	v_add_f64 v[88:89], v[194:195], v[88:89]
	v_mul_f64 v[116:117], v[146:147], s[54:55]
	v_fma_f64 v[194:195], s[36:37], v[130:131], v[192:193]
	v_mul_f64 v[210:211], v[136:137], s[38:39]
	v_mul_f64 v[76:77], v[188:189], s[56:57]
	v_fma_f64 v[74:75], s[36:37], v[176:177], v[78:79]
	v_add_f64 v[218:219], v[218:219], v[222:223]
	v_mul_f64 v[222:223], v[178:179], s[38:39]
	v_fma_f64 v[234:235], v[162:163], s[10:11], -v[230:231]
	v_add_f64 v[240:241], v[240:241], v[248:249]
	v_fmac_f64_e32 v[114:115], s[14:15], v[150:151]
	v_add_f64 v[88:89], v[118:119], v[88:89]
	s_mov_b32 s51, 0xbfeca52d
	s_mov_b32 s50, s24
	v_mul_f64 v[112:113], v[152:153], s[44:45]
	v_fma_f64 v[118:119], s[4:5], v[134:135], v[116:117]
	v_add_f64 v[194:195], v[18:19], v[194:195]
	v_mul_f64 v[206:207], v[138:139], s[54:55]
	v_fma_f64 v[212:213], v[126:127], s[36:37], -v[210:211]
	v_fma_f64 v[72:73], s[14:15], v[182:183], v[76:77]
	v_add_f64 v[74:75], v[74:75], v[218:219]
	v_mul_f64 v[218:219], v[184:185], s[56:57]
	v_fma_f64 v[226:227], v[166:167], s[36:37], -v[222:223]
	v_add_f64 v[234:235], v[234:235], v[240:241]
	v_add_f64 v[88:89], v[114:115], v[88:89]
	v_mul_f64 v[108:109], v[164:165], s[50:51]
	v_fma_f64 v[114:115], s[30:31], v[140:141], v[112:113]
	v_add_f64 v[118:119], v[118:119], v[194:195]
	v_mul_f64 v[202:203], v[144:145], s[44:45]
	v_fma_f64 v[208:209], v[128:129], s[4:5], -v[206:207]
	v_add_f64 v[212:213], v[16:17], v[212:213]
	v_add_f64 v[74:75], v[72:73], v[74:75]
	v_fma_f64 v[72:73], v[172:173], s[14:15], -v[218:219]
	v_add_f64 v[226:227], v[226:227], v[234:235]
	v_fmac_f64_e32 v[106:107], s[30:31], v[162:163]
	v_mul_f64 v[104:105], v[170:171], s[34:35]
	v_fma_f64 v[110:111], s[10:11], v[154:155], v[108:109]
	v_add_f64 v[114:115], v[114:115], v[118:119]
	v_mul_f64 v[198:199], v[156:157], s[50:51]
	v_fma_f64 v[204:205], v[132:133], s[30:31], -v[202:203]
	v_add_f64 v[208:209], v[208:209], v[212:213]
	v_add_f64 v[72:73], v[72:73], v[226:227]
	v_fma_f64 v[226:227], v[140:141], s[4:5], -v[228:229]
	v_fma_f64 v[228:229], v[134:135], s[22:23], -v[232:233]
	;; [unrolled: 1-line block ×3, first 2 shown]
	v_fmac_f64_e32 v[98:99], s[26:27], v[166:167]
	v_add_f64 v[88:89], v[106:107], v[88:89]
	v_mul_f64 v[100:101], v[180:181], s[56:57]
	v_fma_f64 v[106:107], s[26:27], v[158:159], v[104:105]
	v_add_f64 v[110:111], v[110:111], v[114:115]
	v_mul_f64 v[194:195], v[160:161], s[34:35]
	v_fma_f64 v[200:201], v[148:149], s[10:11], -v[198:199]
	v_add_f64 v[204:205], v[204:205], v[208:209]
	v_add_f64 v[232:233], v[18:19], v[232:233]
	v_fmac_f64_e32 v[94:95], s[10:11], v[172:173]
	v_add_f64 v[88:89], v[98:99], v[88:89]
	v_mul_f64 v[98:99], v[186:187], s[28:29]
	v_fma_f64 v[102:103], s[14:15], v[168:169], v[100:101]
	v_add_f64 v[106:107], v[106:107], v[110:111]
	v_mul_f64 v[114:115], v[174:175], s[56:57]
	v_fma_f64 v[196:197], v[150:151], s[26:27], -v[194:195]
	v_add_f64 v[200:201], v[200:201], v[204:205]
	v_add_f64 v[228:229], v[228:229], v[232:233]
	;; [unrolled: 1-line block ×3, first 2 shown]
	v_mul_f64 v[96:97], v[188:189], s[40:41]
	v_fma_f64 v[94:95], s[22:23], v[176:177], v[98:99]
	v_add_f64 v[102:103], v[102:103], v[106:107]
	v_mul_f64 v[106:107], v[178:179], s[28:29]
	v_fma_f64 v[118:119], v[162:163], s[14:15], -v[114:115]
	v_add_f64 v[196:197], v[196:197], v[200:201]
	v_fma_f64 v[224:225], v[154:155], s[30:31], -v[224:225]
	v_add_f64 v[226:227], v[226:227], v[228:229]
	v_fma_f64 v[92:93], s[16:17], v[182:183], v[96:97]
	v_add_f64 v[94:95], v[94:95], v[102:103]
	v_mul_f64 v[102:103], v[184:185], s[40:41]
	v_fma_f64 v[110:111], v[166:167], s[22:23], -v[106:107]
	v_add_f64 v[118:119], v[118:119], v[196:197]
	v_fma_f64 v[220:221], v[158:159], s[16:17], -v[220:221]
	v_add_f64 v[224:225], v[224:225], v[226:227]
	v_add_f64 v[94:95], v[92:93], v[94:95]
	v_fma_f64 v[92:93], v[172:173], s[16:17], -v[102:103]
	v_add_f64 v[110:111], v[110:111], v[118:119]
	v_fma_f64 v[216:217], v[168:169], s[10:11], -v[216:217]
	v_add_f64 v[220:221], v[220:221], v[224:225]
	v_add_f64 v[92:93], v[92:93], v[110:111]
	v_fma_f64 v[110:111], v[140:141], s[30:31], -v[112:113]
	v_fma_f64 v[112:113], v[134:135], s[4:5], -v[116:117]
	;; [unrolled: 1-line block ×4, first 2 shown]
	v_add_f64 v[216:217], v[216:217], v[220:221]
	v_add_f64 v[116:117], v[18:19], v[116:117]
	v_fma_f64 v[76:77], v[182:183], s[14:15], -v[76:77]
	v_add_f64 v[78:79], v[78:79], v[216:217]
	v_fmac_f64_e32 v[250:251], s[26:27], v[126:127]
	v_add_f64 v[112:113], v[112:113], v[116:117]
	v_add_f64 v[78:79], v[76:77], v[78:79]
	v_fmac_f64_e32 v[246:247], s[22:23], v[128:129]
	v_add_f64 v[76:77], v[16:17], v[250:251]
	v_fma_f64 v[108:109], v[154:155], s[10:11], -v[108:109]
	v_add_f64 v[110:111], v[110:111], v[112:113]
	v_fmac_f64_e32 v[244:245], s[4:5], v[132:133]
	v_add_f64 v[76:77], v[246:247], v[76:77]
	v_fma_f64 v[104:105], v[158:159], s[26:27], -v[104:105]
	;; [unrolled: 4-line block ×5, first 2 shown]
	v_add_f64 v[98:99], v[98:99], v[100:101]
	v_fmac_f64_e32 v[210:211], s[36:37], v[126:127]
	v_fmac_f64_e32 v[222:223], s[36:37], v[166:167]
	v_add_f64 v[76:77], v[230:231], v[76:77]
	v_add_f64 v[98:99], v[96:97], v[98:99]
	v_fmac_f64_e32 v[206:207], s[4:5], v[128:129]
	v_add_f64 v[96:97], v[16:17], v[210:211]
	v_fmac_f64_e32 v[218:219], s[14:15], v[172:173]
	;; [unrolled: 2-line block ×3, first 2 shown]
	v_add_f64 v[96:97], v[206:207], v[96:97]
	v_mul_f64 v[200:201], v[142:143], s[18:19]
	v_add_f64 v[76:77], v[218:219], v[76:77]
	v_fmac_f64_e32 v[198:199], s[10:11], v[148:149]
	v_add_f64 v[96:97], v[202:203], v[96:97]
	v_mul_f64 v[196:197], v[146:147], s[34:35]
	v_fma_f64 v[202:203], s[14:15], v[130:131], v[200:201]
	v_mul_f64 v[218:219], v[136:137], s[18:19]
	v_fmac_f64_e32 v[194:195], s[26:27], v[150:151]
	v_add_f64 v[96:97], v[198:199], v[96:97]
	v_mul_f64 v[192:193], v[152:153], s[52:53]
	v_fma_f64 v[198:199], s[26:27], v[134:135], v[196:197]
	v_add_f64 v[202:203], v[18:19], v[202:203]
	v_mul_f64 v[214:215], v[138:139], s[34:35]
	v_fma_f64 v[220:221], v[126:127], s[14:15], -v[218:219]
	v_add_f64 v[96:97], v[194:195], v[96:97]
	v_mul_f64 v[116:117], v[164:165], s[46:47]
	v_fma_f64 v[194:195], s[36:37], v[140:141], v[192:193]
	v_add_f64 v[198:199], v[198:199], v[202:203]
	v_mul_f64 v[210:211], v[144:145], s[52:53]
	v_fma_f64 v[216:217], v[128:129], s[26:27], -v[214:215]
	v_add_f64 v[220:221], v[16:17], v[220:221]
	v_fmac_f64_e32 v[114:115], s[14:15], v[162:163]
	v_mul_f64 v[112:113], v[170:171], s[50:51]
	v_fma_f64 v[118:119], s[22:23], v[154:155], v[116:117]
	v_add_f64 v[194:195], v[194:195], v[198:199]
	v_mul_f64 v[206:207], v[156:157], s[46:47]
	v_fma_f64 v[212:213], v[132:133], s[36:37], -v[210:211]
	v_add_f64 v[216:217], v[216:217], v[220:221]
	v_fmac_f64_e32 v[106:107], s[22:23], v[166:167]
	v_add_f64 v[96:97], v[114:115], v[96:97]
	v_mul_f64 v[108:109], v[180:181], s[12:13]
	v_fma_f64 v[114:115], s[10:11], v[158:159], v[112:113]
	v_add_f64 v[118:119], v[118:119], v[194:195]
	v_mul_f64 v[202:203], v[160:161], s[50:51]
	v_fma_f64 v[208:209], v[148:149], s[22:23], -v[206:207]
	v_add_f64 v[212:213], v[212:213], v[216:217]
	v_fmac_f64_e32 v[102:103], s[16:17], v[172:173]
	v_add_f64 v[96:97], v[106:107], v[96:97]
	v_mul_f64 v[106:107], v[186:187], s[42:43]
	v_fma_f64 v[110:111], s[4:5], v[168:169], v[108:109]
	v_add_f64 v[114:115], v[114:115], v[118:119]
	v_mul_f64 v[194:195], v[174:175], s[12:13]
	v_fma_f64 v[204:205], v[150:151], s[10:11], -v[202:203]
	v_add_f64 v[208:209], v[208:209], v[212:213]
	v_add_f64 v[96:97], v[102:103], v[96:97]
	v_mul_f64 v[104:105], v[188:189], s[44:45]
	v_fma_f64 v[102:103], s[16:17], v[176:177], v[106:107]
	v_add_f64 v[110:111], v[110:111], v[114:115]
	v_mul_f64 v[114:115], v[178:179], s[42:43]
	v_fma_f64 v[198:199], v[162:163], s[4:5], -v[194:195]
	v_add_f64 v[204:205], v[204:205], v[208:209]
	v_fma_f64 v[100:101], s[30:31], v[182:183], v[104:105]
	v_add_f64 v[102:103], v[102:103], v[110:111]
	v_mul_f64 v[110:111], v[184:185], s[44:45]
	v_fma_f64 v[118:119], v[166:167], s[16:17], -v[114:115]
	v_add_f64 v[198:199], v[198:199], v[204:205]
	v_add_f64 v[102:103], v[100:101], v[102:103]
	v_fma_f64 v[100:101], v[172:173], s[30:31], -v[110:111]
	v_add_f64 v[118:119], v[118:119], v[198:199]
	v_add_f64 v[100:101], v[100:101], v[118:119]
	v_fma_f64 v[118:119], v[140:141], s[36:37], -v[192:193]
	v_fma_f64 v[192:193], v[134:135], s[26:27], -v[196:197]
	;; [unrolled: 1-line block ×3, first 2 shown]
	v_add_f64 v[196:197], v[18:19], v[196:197]
	v_add_f64 v[192:193], v[192:193], v[196:197]
	v_fma_f64 v[116:117], v[154:155], s[22:23], -v[116:117]
	v_add_f64 v[118:119], v[118:119], v[192:193]
	v_fma_f64 v[112:113], v[158:159], s[10:11], -v[112:113]
	;; [unrolled: 2-line block ×5, first 2 shown]
	v_add_f64 v[106:107], v[106:107], v[108:109]
	v_fmac_f64_e32 v[218:219], s[14:15], v[126:127]
	v_add_f64 v[106:107], v[104:105], v[106:107]
	v_fmac_f64_e32 v[214:215], s[26:27], v[128:129]
	;; [unrolled: 2-line block ×3, first 2 shown]
	v_add_f64 v[104:105], v[214:215], v[104:105]
	v_mul_f64 v[208:209], v[142:143], s[50:51]
	v_fmac_f64_e32 v[206:207], s[22:23], v[148:149]
	v_add_f64 v[104:105], v[210:211], v[104:105]
	s_mov_b32 s43, 0x3fc7851a
	s_mov_b32 s42, s34
	v_mul_f64 v[204:205], v[146:147], s[40:41]
	v_fma_f64 v[210:211], s[10:11], v[130:131], v[208:209]
	v_mul_f64 v[226:227], v[136:137], s[50:51]
	v_fmac_f64_e32 v[202:203], s[10:11], v[150:151]
	v_add_f64 v[104:105], v[206:207], v[104:105]
	v_mul_f64 v[200:201], v[152:153], s[42:43]
	v_fma_f64 v[206:207], s[16:17], v[134:135], v[204:205]
	v_add_f64 v[210:211], v[18:19], v[210:211]
	v_mul_f64 v[222:223], v[138:139], s[40:41]
	v_fma_f64 v[228:229], v[126:127], s[10:11], -v[226:227]
	v_add_f64 v[104:105], v[202:203], v[104:105]
	v_mul_f64 v[196:197], v[164:165], s[52:53]
	v_fma_f64 v[202:203], s[26:27], v[140:141], v[200:201]
	v_add_f64 v[206:207], v[206:207], v[210:211]
	v_mul_f64 v[218:219], v[144:145], s[42:43]
	v_fma_f64 v[224:225], v[128:129], s[16:17], -v[222:223]
	v_add_f64 v[228:229], v[16:17], v[228:229]
	v_fmac_f64_e32 v[194:195], s[4:5], v[162:163]
	v_mul_f64 v[192:193], v[170:171], s[44:45]
	v_fma_f64 v[198:199], s[36:37], v[154:155], v[196:197]
	v_add_f64 v[202:203], v[202:203], v[206:207]
	v_mul_f64 v[214:215], v[156:157], s[52:53]
	v_fma_f64 v[220:221], v[132:133], s[26:27], -v[218:219]
	v_add_f64 v[224:225], v[224:225], v[228:229]
	v_fmac_f64_e32 v[114:115], s[16:17], v[166:167]
	v_add_f64 v[104:105], v[194:195], v[104:105]
	v_mul_f64 v[116:117], v[180:181], s[28:29]
	v_fma_f64 v[194:195], s[30:31], v[158:159], v[192:193]
	v_add_f64 v[198:199], v[198:199], v[202:203]
	v_mul_f64 v[210:211], v[160:161], s[44:45]
	v_fma_f64 v[216:217], v[148:149], s[36:37], -v[214:215]
	v_add_f64 v[220:221], v[220:221], v[224:225]
	v_fmac_f64_e32 v[110:111], s[30:31], v[172:173]
	v_add_f64 v[104:105], v[114:115], v[104:105]
	v_mul_f64 v[114:115], v[186:187], s[18:19]
	v_fma_f64 v[118:119], s[22:23], v[168:169], v[116:117]
	v_add_f64 v[194:195], v[194:195], v[198:199]
	v_mul_f64 v[202:203], v[174:175], s[28:29]
	v_fma_f64 v[212:213], v[150:151], s[30:31], -v[210:211]
	v_add_f64 v[216:217], v[216:217], v[220:221]
	v_add_f64 v[104:105], v[110:111], v[104:105]
	v_mul_f64 v[112:113], v[188:189], s[12:13]
	v_fma_f64 v[110:111], s[14:15], v[176:177], v[114:115]
	v_add_f64 v[118:119], v[118:119], v[194:195]
	v_mul_f64 v[198:199], v[178:179], s[18:19]
	v_fma_f64 v[206:207], v[162:163], s[22:23], -v[202:203]
	v_add_f64 v[212:213], v[212:213], v[216:217]
	v_fma_f64 v[108:109], s[4:5], v[182:183], v[112:113]
	v_add_f64 v[110:111], v[110:111], v[118:119]
	v_mul_f64 v[194:195], v[184:185], s[12:13]
	v_fma_f64 v[118:119], v[166:167], s[14:15], -v[198:199]
	v_add_f64 v[206:207], v[206:207], v[212:213]
	v_add_f64 v[110:111], v[108:109], v[110:111]
	v_fma_f64 v[108:109], v[172:173], s[4:5], -v[194:195]
	v_add_f64 v[118:119], v[118:119], v[206:207]
	v_add_f64 v[108:109], v[108:109], v[118:119]
	v_fma_f64 v[118:119], v[158:159], s[30:31], -v[192:193]
	v_fma_f64 v[192:193], v[154:155], s[36:37], -v[196:197]
	;; [unrolled: 1-line block ×5, first 2 shown]
	v_add_f64 v[204:205], v[18:19], v[204:205]
	v_add_f64 v[200:201], v[200:201], v[204:205]
	;; [unrolled: 1-line block ×4, first 2 shown]
	v_fma_f64 v[116:117], v[168:169], s[22:23], -v[116:117]
	v_add_f64 v[118:119], v[118:119], v[192:193]
	v_fma_f64 v[114:115], v[176:177], s[14:15], -v[114:115]
	v_add_f64 v[116:117], v[116:117], v[118:119]
	;; [unrolled: 2-line block ×3, first 2 shown]
	v_fmac_f64_e32 v[226:227], s[10:11], v[126:127]
	v_add_f64 v[118:119], v[112:113], v[114:115]
	v_fmac_f64_e32 v[222:223], s[16:17], v[128:129]
	v_add_f64 v[112:113], v[16:17], v[226:227]
	;; [unrolled: 2-line block ×3, first 2 shown]
	v_mul_f64 v[216:217], v[142:143], s[48:49]
	v_fmac_f64_e32 v[214:215], s[36:37], v[148:149]
	v_add_f64 v[112:113], v[218:219], v[112:113]
	v_mul_f64 v[212:213], v[146:147], s[18:19]
	v_fma_f64 v[218:219], s[30:31], v[130:131], v[216:217]
	v_mul_f64 v[234:235], v[136:137], s[48:49]
	v_fmac_f64_e32 v[210:211], s[30:31], v[150:151]
	v_add_f64 v[112:113], v[214:215], v[112:113]
	v_mul_f64 v[208:209], v[152:153], s[40:41]
	v_fma_f64 v[214:215], s[14:15], v[134:135], v[212:213]
	v_add_f64 v[218:219], v[18:19], v[218:219]
	v_mul_f64 v[230:231], v[138:139], s[18:19]
	v_fma_f64 v[236:237], v[126:127], s[30:31], -v[234:235]
	v_add_f64 v[14:15], v[18:19], v[14:15]
	v_fmac_f64_e32 v[202:203], s[22:23], v[162:163]
	v_add_f64 v[112:113], v[210:211], v[112:113]
	v_mul_f64 v[204:205], v[164:165], s[34:35]
	v_fma_f64 v[210:211], s[16:17], v[140:141], v[208:209]
	v_add_f64 v[214:215], v[214:215], v[218:219]
	v_mul_f64 v[226:227], v[144:145], s[40:41]
	v_fma_f64 v[232:233], v[128:129], s[14:15], -v[230:231]
	v_add_f64 v[236:237], v[16:17], v[236:237]
	v_add_f64 v[14:15], v[14:15], v[22:23]
	v_fmac_f64_e32 v[198:199], s[14:15], v[166:167]
	v_add_f64 v[112:113], v[202:203], v[112:113]
	v_mul_f64 v[200:201], v[170:171], s[54:55]
	v_fma_f64 v[206:207], s[26:27], v[154:155], v[204:205]
	v_add_f64 v[210:211], v[210:211], v[214:215]
	v_mul_f64 v[222:223], v[156:157], s[34:35]
	v_fma_f64 v[228:229], v[132:133], s[16:17], -v[226:227]
	v_add_f64 v[232:233], v[232:233], v[236:237]
	;; [unrolled: 9-line block ×3, first 2 shown]
	v_add_f64 v[14:15], v[14:15], v[38:39]
	v_add_f64 v[116:117], v[194:195], v[112:113]
	v_mul_f64 v[194:195], v[186:187], s[24:25]
	v_fma_f64 v[198:199], s[36:37], v[168:169], v[196:197]
	v_add_f64 v[202:203], v[202:203], v[206:207]
	v_mul_f64 v[210:211], v[174:175], s[52:53]
	v_fma_f64 v[220:221], v[150:151], s[4:5], -v[218:219]
	v_add_f64 v[224:225], v[224:225], v[228:229]
	v_add_f64 v[14:15], v[14:15], v[42:43]
	v_mul_f64 v[192:193], v[188:189], s[46:47]
	v_fma_f64 v[114:115], s[10:11], v[176:177], v[194:195]
	v_add_f64 v[198:199], v[198:199], v[202:203]
	v_mul_f64 v[202:203], v[178:179], s[24:25]
	v_fma_f64 v[214:215], v[162:163], s[36:37], -v[210:211]
	v_add_f64 v[220:221], v[220:221], v[224:225]
	v_add_f64 v[14:15], v[14:15], v[54:55]
	v_fma_f64 v[112:113], s[22:23], v[182:183], v[192:193]
	v_add_f64 v[114:115], v[114:115], v[198:199]
	v_mul_f64 v[198:199], v[184:185], s[46:47]
	v_fma_f64 v[206:207], v[166:167], s[10:11], -v[202:203]
	v_add_f64 v[214:215], v[214:215], v[220:221]
	v_add_f64 v[14:15], v[14:15], v[58:59]
	;; [unrolled: 1-line block ×3, first 2 shown]
	v_fma_f64 v[112:113], v[172:173], s[22:23], -v[198:199]
	v_add_f64 v[206:207], v[206:207], v[214:215]
	v_add_f64 v[14:15], v[14:15], v[66:67]
	v_add_f64 v[112:113], v[112:113], v[206:207]
	v_fma_f64 v[206:207], v[140:141], s[16:17], -v[208:209]
	v_fma_f64 v[208:209], v[134:135], s[14:15], -v[212:213]
	;; [unrolled: 1-line block ×3, first 2 shown]
	v_add_f64 v[14:15], v[14:15], v[70:71]
	v_add_f64 v[212:213], v[18:19], v[212:213]
	;; [unrolled: 1-line block ×5, first 2 shown]
	v_fma_f64 v[204:205], v[154:155], s[26:27], -v[204:205]
	v_add_f64 v[206:207], v[206:207], v[208:209]
	v_add_f64 v[14:15], v[14:15], v[46:47]
	v_fma_f64 v[200:201], v[158:159], s[4:5], -v[200:201]
	v_add_f64 v[204:205], v[204:205], v[206:207]
	v_add_f64 v[14:15], v[14:15], v[34:35]
	;; [unrolled: 3-line block ×4, first 2 shown]
	v_fma_f64 v[192:193], v[182:183], s[22:23], -v[192:193]
	v_add_f64 v[194:195], v[194:195], v[196:197]
	v_fmac_f64_e32 v[234:235], s[30:31], v[126:127]
	v_add_f64 v[6:7], v[10:11], v[6:7]
	v_add_f64 v[10:11], v[16:17], v[12:13]
	v_add_f64 v[194:195], v[192:193], v[194:195]
	v_fmac_f64_e32 v[230:231], s[14:15], v[128:129]
	v_add_f64 v[192:193], v[16:17], v[234:235]
	v_add_f64 v[10:11], v[10:11], v[20:21]
	v_fmac_f64_e32 v[226:227], s[16:17], v[132:133]
	v_add_f64 v[192:193], v[230:231], v[192:193]
	v_add_f64 v[10:11], v[10:11], v[24:25]
	;; [unrolled: 3-line block ×4, first 2 shown]
	v_fmac_f64_e32 v[210:211], s[36:37], v[162:163]
	v_add_f64 v[192:193], v[218:219], v[192:193]
	v_mul_f64 v[142:143], v[142:143], s[28:29]
	v_add_f64 v[10:11], v[10:11], v[52:53]
	v_add_f64 v[192:193], v[210:211], v[192:193]
	v_mul_f64 v[208:209], v[146:147], s[48:49]
	v_fma_f64 v[210:211], s[22:23], v[130:131], v[142:143]
	v_add_f64 v[10:11], v[10:11], v[56:57]
	v_mul_f64 v[152:153], v[152:153], s[50:51]
	v_fma_f64 v[146:147], s[30:31], v[134:135], v[208:209]
	v_add_f64 v[210:211], v[18:19], v[210:211]
	v_mul_f64 v[136:137], v[136:137], s[28:29]
	v_add_f64 v[10:11], v[10:11], v[64:65]
	v_fma_f64 v[206:207], s[10:11], v[140:141], v[152:153]
	v_add_f64 v[146:147], v[146:147], v[210:211]
	v_mul_f64 v[138:139], v[138:139], s[48:49]
	v_fma_f64 v[212:213], v[126:127], s[22:23], -v[136:137]
	v_fma_f64 v[130:131], v[130:131], s[22:23], -v[142:143]
	v_fmac_f64_e32 v[136:137], s[22:23], v[126:127]
	v_add_f64 v[10:11], v[10:11], v[68:69]
	v_mul_f64 v[164:165], v[164:165], s[18:19]
	v_add_f64 v[146:147], v[206:207], v[146:147]
	v_mul_f64 v[206:207], v[144:145], s[50:51]
	v_fma_f64 v[210:211], v[128:129], s[30:31], -v[138:139]
	v_add_f64 v[212:213], v[16:17], v[212:213]
	v_fma_f64 v[134:135], v[134:135], s[30:31], -v[208:209]
	v_add_f64 v[130:131], v[18:19], v[130:131]
	v_fmac_f64_e32 v[138:139], s[30:31], v[128:129]
	v_add_f64 v[126:127], v[16:17], v[136:137]
	v_add_f64 v[10:11], v[10:11], v[60:61]
	v_fmac_f64_e32 v[202:203], s[10:11], v[166:167]
	v_mul_f64 v[170:171], v[170:171], s[38:39]
	v_fma_f64 v[204:205], s[14:15], v[154:155], v[164:165]
	v_mul_f64 v[156:157], v[156:157], s[18:19]
	v_fma_f64 v[144:145], v[132:133], s[10:11], -v[206:207]
	v_add_f64 v[210:211], v[210:211], v[212:213]
	v_fma_f64 v[140:141], v[140:141], s[10:11], -v[152:153]
	v_add_f64 v[130:131], v[134:135], v[130:131]
	v_fmac_f64_e32 v[206:207], s[10:11], v[132:133]
	v_add_f64 v[126:127], v[138:139], v[126:127]
	v_add_f64 v[10:11], v[10:11], v[48:49]
	;; [unrolled: 1-line block ×3, first 2 shown]
	v_mul_f64 v[180:181], v[180:181], s[40:41]
	v_fma_f64 v[202:203], s[36:37], v[158:159], v[170:171]
	v_add_f64 v[146:147], v[204:205], v[146:147]
	v_mul_f64 v[160:161], v[160:161], s[38:39]
	v_fma_f64 v[204:205], v[148:149], s[14:15], -v[156:157]
	v_add_f64 v[144:145], v[144:145], v[210:211]
	v_fma_f64 v[154:155], v[154:155], s[14:15], -v[164:165]
	v_add_f64 v[130:131], v[140:141], v[130:131]
	v_fmac_f64_e32 v[156:157], s[14:15], v[148:149]
	v_add_f64 v[126:127], v[206:207], v[126:127]
	v_add_f64 v[10:11], v[10:11], v[44:45]
	v_fmac_f64_e32 v[198:199], s[22:23], v[172:173]
	v_mul_f64 v[186:187], v[186:187], s[12:13]
	v_fma_f64 v[200:201], s[16:17], v[168:169], v[180:181]
	v_add_f64 v[146:147], v[202:203], v[146:147]
	v_mul_f64 v[174:175], v[174:175], s[40:41]
	v_fma_f64 v[202:203], v[150:151], s[36:37], -v[160:161]
	v_add_f64 v[144:145], v[204:205], v[144:145]
	v_fma_f64 v[158:159], v[158:159], s[36:37], -v[170:171]
	v_add_f64 v[130:131], v[154:155], v[130:131]
	v_fmac_f64_e32 v[160:161], s[36:37], v[150:151]
	v_add_f64 v[126:127], v[156:157], v[126:127]
	v_add_f64 v[10:11], v[10:11], v[32:33]
	;; [unrolled: 1-line block ×3, first 2 shown]
	v_mul_f64 v[188:189], v[188:189], s[34:35]
	v_fma_f64 v[198:199], s[4:5], v[176:177], v[186:187]
	v_add_f64 v[146:147], v[200:201], v[146:147]
	v_mul_f64 v[178:179], v[178:179], s[12:13]
	v_fma_f64 v[200:201], v[162:163], s[16:17], -v[174:175]
	v_add_f64 v[144:145], v[202:203], v[144:145]
	v_fma_f64 v[168:169], v[168:169], s[16:17], -v[180:181]
	v_add_f64 v[130:131], v[158:159], v[130:131]
	v_fmac_f64_e32 v[174:175], s[16:17], v[162:163]
	v_add_f64 v[126:127], v[160:161], v[126:127]
	v_add_f64 v[10:11], v[10:11], v[28:29]
	v_fma_f64 v[196:197], s[26:27], v[182:183], v[188:189]
	v_add_f64 v[146:147], v[198:199], v[146:147]
	v_mul_f64 v[184:185], v[184:185], s[34:35]
	v_fma_f64 v[198:199], v[166:167], s[4:5], -v[178:179]
	v_add_f64 v[144:145], v[200:201], v[144:145]
	v_fma_f64 v[176:177], v[176:177], s[4:5], -v[186:187]
	v_add_f64 v[130:131], v[168:169], v[130:131]
	v_fmac_f64_e32 v[178:179], s[4:5], v[166:167]
	v_add_f64 v[126:127], v[174:175], v[126:127]
	v_add_f64 v[8:9], v[10:11], v[8:9]
	;; [unrolled: 1-line block ×3, first 2 shown]
	v_fma_f64 v[196:197], v[172:173], s[26:27], -v[184:185]
	v_add_f64 v[144:145], v[198:199], v[144:145]
	v_fma_f64 v[182:183], v[182:183], s[26:27], -v[188:189]
	v_add_f64 v[130:131], v[176:177], v[130:131]
	v_fmac_f64_e32 v[184:185], s[26:27], v[172:173]
	v_add_f64 v[126:127], v[178:179], v[126:127]
	v_add_f64 v[4:5], v[8:9], v[4:5]
	v_lshl_add_u32 v8, v124, 8, v190
	v_add_f64 v[144:145], v[196:197], v[144:145]
	v_add_f64 v[130:131], v[182:183], v[130:131]
	;; [unrolled: 1-line block ×3, first 2 shown]
	ds_write_b128 v8, v[4:7]
	ds_write_b128 v8, v[128:131] offset:16
	ds_write_b128 v8, v[192:195] offset:32
	;; [unrolled: 1-line block ×16, first 2 shown]
.LBB0_21:
	s_or_b64 exec, exec, s[20:21]
	s_movk_i32 s4, 0xf1
	v_mul_lo_u16_sdwa v4, v124, s4 dst_sel:DWORD dst_unused:UNUSED_PAD src0_sel:BYTE_0 src1_sel:DWORD
	v_lshrrev_b16_e32 v98, 12, v4
	v_mul_lo_u16_e32 v4, 17, v98
	v_sub_u16_e32 v99, v124, v4
	v_mov_b32_e32 v4, 9
	v_mul_u32_u24_sdwa v4, v99, v4 dst_sel:DWORD dst_unused:UNUSED_PAD src0_sel:BYTE_0 src1_sel:DWORD
	v_lshlrev_b32_e32 v36, 4, v4
	s_waitcnt lgkmcnt(0)
	s_barrier
	global_load_dwordx4 v[4:7], v36, s[8:9]
	global_load_dwordx4 v[8:11], v36, s[8:9] offset:16
	global_load_dwordx4 v[12:15], v36, s[8:9] offset:32
	;; [unrolled: 1-line block ×8, first 2 shown]
	ds_read_b128 v[36:39], v190
	ds_read_b128 v[44:47], v190 offset:2992
	ds_read_b128 v[48:51], v190 offset:5984
	;; [unrolled: 1-line block ×9, first 2 shown]
	s_mov_b32 s16, 0x134454ff
	s_mov_b32 s17, 0xbfee6f0e
	;; [unrolled: 1-line block ×12, first 2 shown]
	s_waitcnt lgkmcnt(0)
	s_barrier
	s_waitcnt vmcnt(8)
	v_mul_f64 v[80:81], v[46:47], v[6:7]
	v_mul_f64 v[6:7], v[44:45], v[6:7]
	s_waitcnt vmcnt(7)
	v_mul_f64 v[82:83], v[50:51], v[10:11]
	s_waitcnt vmcnt(5)
	v_mul_f64 v[86:87], v[58:59], v[18:19]
	v_mul_f64 v[10:11], v[48:49], v[10:11]
	s_waitcnt vmcnt(3)
	v_mul_f64 v[90:91], v[66:67], v[26:27]
	v_mul_f64 v[18:19], v[56:57], v[18:19]
	;; [unrolled: 1-line block ×4, first 2 shown]
	s_waitcnt vmcnt(1)
	v_mul_f64 v[94:95], v[74:75], v[34:35]
	v_mul_f64 v[34:35], v[72:73], v[34:35]
	v_fmac_f64_e32 v[86:87], v[56:57], v[16:17]
	v_fmac_f64_e32 v[90:91], v[64:65], v[24:25]
	v_mul_f64 v[84:85], v[54:55], v[14:15]
	v_mul_f64 v[14:15], v[52:53], v[14:15]
	;; [unrolled: 1-line block ×5, first 2 shown]
	v_fmac_f64_e32 v[80:81], v[44:45], v[4:5]
	v_fma_f64 v[44:45], v[46:47], v[4:5], -v[6:7]
	v_fmac_f64_e32 v[82:83], v[48:49], v[8:9]
	v_fma_f64 v[4:5], v[50:51], v[8:9], -v[10:11]
	v_fma_f64 v[8:9], v[58:59], v[16:17], -v[18:19]
	;; [unrolled: 1-line block ×3, first 2 shown]
	v_fmac_f64_e32 v[94:95], v[72:73], v[32:33]
	v_fma_f64 v[16:17], v[74:75], v[32:33], -v[34:35]
	v_add_f64 v[22:23], v[86:87], v[90:91]
	v_fmac_f64_e32 v[84:85], v[52:53], v[12:13]
	v_fma_f64 v[6:7], v[54:55], v[12:13], -v[14:15]
	v_fmac_f64_e32 v[88:89], v[60:61], v[20:21]
	v_fma_f64 v[12:13], v[66:67], v[24:25], -v[26:27]
	;; [unrolled: 2-line block ×3, first 2 shown]
	v_add_f64 v[20:21], v[36:37], v[82:83]
	v_add_f64 v[24:25], v[4:5], -v[16:17]
	v_add_f64 v[28:29], v[82:83], -v[86:87]
	;; [unrolled: 1-line block ×3, first 2 shown]
	v_fma_f64 v[34:35], -0.5, v[22:23], v[36:37]
	v_add_f64 v[26:27], v[8:9], -v[12:13]
	v_add_f64 v[32:33], v[82:83], v[94:95]
	v_add_f64 v[20:21], v[20:21], v[86:87]
	;; [unrolled: 1-line block ×3, first 2 shown]
	v_fma_f64 v[28:29], s[16:17], v[24:25], v[34:35]
	v_fmac_f64_e32 v[34:35], s[10:11], v[24:25]
	v_add_f64 v[20:21], v[20:21], v[90:91]
	v_fmac_f64_e32 v[28:29], s[14:15], v[26:27]
	v_fmac_f64_e32 v[34:35], s[4:5], v[26:27]
	v_fmac_f64_e32 v[36:37], -0.5, v[32:33]
	v_add_f64 v[30:31], v[20:21], v[94:95]
	v_fmac_f64_e32 v[28:29], s[12:13], v[22:23]
	v_fmac_f64_e32 v[34:35], s[12:13], v[22:23]
	v_fma_f64 v[32:33], s[10:11], v[26:27], v[36:37]
	v_add_f64 v[20:21], v[86:87], -v[82:83]
	v_add_f64 v[22:23], v[90:91], -v[94:95]
	v_fmac_f64_e32 v[36:37], s[16:17], v[26:27]
	v_fmac_f64_e32 v[32:33], s[14:15], v[24:25]
	v_add_f64 v[20:21], v[20:21], v[22:23]
	v_fmac_f64_e32 v[36:37], s[4:5], v[24:25]
	v_fmac_f64_e32 v[32:33], s[12:13], v[20:21]
	;; [unrolled: 1-line block ×3, first 2 shown]
	v_add_f64 v[20:21], v[38:39], v[4:5]
	v_add_f64 v[20:21], v[20:21], v[8:9]
	;; [unrolled: 1-line block ×3, first 2 shown]
	s_waitcnt vmcnt(0)
	v_mul_f64 v[96:97], v[78:79], v[42:43]
	v_mul_f64 v[42:43], v[76:77], v[42:43]
	v_add_f64 v[26:27], v[20:21], v[16:17]
	v_add_f64 v[20:21], v[8:9], v[12:13]
	v_fma_f64 v[18:19], v[78:79], v[40:41], -v[42:43]
	v_fma_f64 v[42:43], -0.5, v[20:21], v[38:39]
	v_add_f64 v[20:21], v[82:83], -v[94:95]
	v_fmac_f64_e32 v[96:97], v[76:77], v[40:41]
	v_fma_f64 v[46:47], s[10:11], v[20:21], v[42:43]
	v_add_f64 v[22:23], v[86:87], -v[90:91]
	v_add_f64 v[24:25], v[4:5], -v[8:9]
	;; [unrolled: 1-line block ×3, first 2 shown]
	v_fmac_f64_e32 v[42:43], s[16:17], v[20:21]
	v_fmac_f64_e32 v[46:47], s[4:5], v[22:23]
	v_add_f64 v[24:25], v[24:25], v[40:41]
	v_fmac_f64_e32 v[42:43], s[14:15], v[22:23]
	v_fmac_f64_e32 v[46:47], s[12:13], v[24:25]
	;; [unrolled: 1-line block ×3, first 2 shown]
	v_add_f64 v[24:25], v[4:5], v[16:17]
	v_fmac_f64_e32 v[38:39], -0.5, v[24:25]
	v_fma_f64 v[48:49], s[16:17], v[22:23], v[38:39]
	v_add_f64 v[4:5], v[8:9], -v[4:5]
	v_add_f64 v[8:9], v[12:13], -v[16:17]
	v_fmac_f64_e32 v[38:39], s[10:11], v[22:23]
	v_fmac_f64_e32 v[48:49], s[4:5], v[20:21]
	v_add_f64 v[4:5], v[4:5], v[8:9]
	v_fmac_f64_e32 v[38:39], s[14:15], v[20:21]
	v_fmac_f64_e32 v[48:49], s[12:13], v[4:5]
	;; [unrolled: 1-line block ×3, first 2 shown]
	v_add_f64 v[4:5], v[80:81], v[84:85]
	v_add_f64 v[4:5], v[4:5], v[88:89]
	;; [unrolled: 1-line block ×5, first 2 shown]
	v_fma_f64 v[22:23], -0.5, v[4:5], v[80:81]
	v_add_f64 v[4:5], v[6:7], -v[18:19]
	v_fma_f64 v[40:41], s[16:17], v[4:5], v[22:23]
	v_add_f64 v[8:9], v[10:11], -v[14:15]
	v_add_f64 v[12:13], v[84:85], -v[88:89]
	;; [unrolled: 1-line block ×3, first 2 shown]
	v_fmac_f64_e32 v[22:23], s[10:11], v[4:5]
	v_fmac_f64_e32 v[40:41], s[14:15], v[8:9]
	v_add_f64 v[12:13], v[12:13], v[16:17]
	v_fmac_f64_e32 v[22:23], s[4:5], v[8:9]
	v_fmac_f64_e32 v[40:41], s[12:13], v[12:13]
	;; [unrolled: 1-line block ×3, first 2 shown]
	v_add_f64 v[12:13], v[84:85], v[96:97]
	v_fmac_f64_e32 v[80:81], -0.5, v[12:13]
	v_fma_f64 v[50:51], s[10:11], v[8:9], v[80:81]
	v_fmac_f64_e32 v[80:81], s[16:17], v[8:9]
	v_fmac_f64_e32 v[50:51], s[14:15], v[4:5]
	;; [unrolled: 1-line block ×3, first 2 shown]
	v_add_f64 v[4:5], v[44:45], v[6:7]
	v_add_f64 v[4:5], v[4:5], v[10:11]
	;; [unrolled: 1-line block ×3, first 2 shown]
	v_add_f64 v[12:13], v[88:89], -v[84:85]
	v_add_f64 v[16:17], v[92:93], -v[96:97]
	v_add_f64 v[52:53], v[4:5], v[18:19]
	v_add_f64 v[4:5], v[10:11], v[14:15]
	;; [unrolled: 1-line block ×3, first 2 shown]
	v_fma_f64 v[54:55], -0.5, v[4:5], v[44:45]
	v_add_f64 v[4:5], v[84:85], -v[96:97]
	v_fmac_f64_e32 v[50:51], s[12:13], v[12:13]
	v_fmac_f64_e32 v[80:81], s[12:13], v[12:13]
	v_fma_f64 v[56:57], s[10:11], v[4:5], v[54:55]
	v_add_f64 v[8:9], v[88:89], -v[92:93]
	v_add_f64 v[12:13], v[6:7], -v[10:11]
	v_add_f64 v[16:17], v[18:19], -v[14:15]
	v_fmac_f64_e32 v[54:55], s[16:17], v[4:5]
	v_fmac_f64_e32 v[56:57], s[4:5], v[8:9]
	v_add_f64 v[12:13], v[12:13], v[16:17]
	v_fmac_f64_e32 v[54:55], s[14:15], v[8:9]
	v_fmac_f64_e32 v[56:57], s[12:13], v[12:13]
	v_fmac_f64_e32 v[54:55], s[12:13], v[12:13]
	v_add_f64 v[12:13], v[6:7], v[18:19]
	v_fmac_f64_e32 v[44:45], -0.5, v[12:13]
	v_fma_f64 v[58:59], s[16:17], v[8:9], v[44:45]
	v_add_f64 v[6:7], v[10:11], -v[6:7]
	v_add_f64 v[10:11], v[14:15], -v[18:19]
	v_fmac_f64_e32 v[44:45], s[10:11], v[8:9]
	v_fmac_f64_e32 v[58:59], s[4:5], v[4:5]
	v_add_f64 v[6:7], v[6:7], v[10:11]
	v_fmac_f64_e32 v[44:45], s[14:15], v[4:5]
	v_fmac_f64_e32 v[58:59], s[12:13], v[6:7]
	;; [unrolled: 1-line block ×3, first 2 shown]
	v_mul_f64 v[62:63], v[58:59], s[16:17]
	v_mul_f64 v[64:65], v[44:45], s[16:17]
	s_mov_b32 s17, 0xbfd3c6ef
	s_mov_b32 s16, s12
	v_mul_f64 v[44:45], v[44:45], s[16:17]
	v_mul_f64 v[60:61], v[56:57], s[14:15]
	;; [unrolled: 1-line block ×3, first 2 shown]
	s_mov_b32 s15, 0xbfe9e377
	s_mov_b32 s14, s18
	v_mul_f64 v[58:59], v[58:59], s[12:13]
	v_fmac_f64_e32 v[44:45], s[10:11], v[80:81]
	v_fmac_f64_e32 v[62:63], s[12:13], v[50:51]
	v_mul_f64 v[56:57], v[56:57], s[18:19]
	v_fmac_f64_e32 v[58:59], s[10:11], v[50:51]
	v_add_f64 v[18:19], v[38:39], v[44:45]
	v_mul_f64 v[50:51], v[54:55], s[14:15]
	v_add_f64 v[38:39], v[38:39], -v[44:45]
	v_mov_b32_e32 v45, 4
	v_fmac_f64_e32 v[60:61], s[18:19], v[40:41]
	v_fmac_f64_e32 v[64:65], s[16:17], v[80:81]
	;; [unrolled: 1-line block ×5, first 2 shown]
	v_mul_u32_u24_e32 v44, 0xaa0, v98
	v_lshlrev_b32_sdwa v45, v45, v99 dst_sel:DWORD dst_unused:UNUSED_PAD src0_sel:DWORD src1_sel:BYTE_0
	s_movk_i32 s4, 0xaa
	v_add_f64 v[4:5], v[30:31], v[24:25]
	v_add_f64 v[8:9], v[28:29], v[60:61]
	;; [unrolled: 1-line block ×9, first 2 shown]
	v_add_f64 v[24:25], v[30:31], -v[24:25]
	v_add_f64 v[28:29], v[28:29], -v[60:61]
	;; [unrolled: 1-line block ×9, first 2 shown]
	v_add3_u32 v44, 0, v44, v45
	v_cmp_gt_u32_e32 vcc, s4, v124
	ds_write_b128 v44, v[4:7]
	ds_write_b128 v44, v[8:11] offset:272
	ds_write_b128 v44, v[12:15] offset:544
	;; [unrolled: 1-line block ×9, first 2 shown]
	s_waitcnt lgkmcnt(0)
	s_barrier
	s_and_saveexec_b64 s[4:5], vcc
	s_cbranch_execz .LBB0_23
; %bb.22:
	ds_read_b128 v[4:7], v190
	ds_read_b128 v[8:11], v190 offset:2720
	ds_read_b128 v[12:15], v190 offset:5440
	;; [unrolled: 1-line block ×10, first 2 shown]
.LBB0_23:
	s_or_b64 exec, exec, s[4:5]
	s_waitcnt lgkmcnt(0)
	s_barrier
	s_and_saveexec_b64 s[4:5], vcc
	s_cbranch_execz .LBB0_25
; %bb.24:
	v_add_u32_e32 v44, 0xffffff56, v124
	v_cndmask_b32_e32 v44, v44, v124, vcc
	v_mul_i32_i24_e32 v44, 10, v44
	v_mov_b32_e32 v45, 0
	v_lshl_add_u64 v[44:45], v[44:45], 4, s[8:9]
	global_load_dwordx4 v[64:67], v[44:45], off offset:2512
	global_load_dwordx4 v[68:71], v[44:45], off offset:2528
	;; [unrolled: 1-line block ×10, first 2 shown]
	s_mov_b32 s22, 0xfd768dbf
	s_mov_b32 s26, 0xf8bb580b
	;; [unrolled: 1-line block ×26, first 2 shown]
	s_waitcnt vmcnt(9)
	v_mul_f64 v[44:45], v[26:27], v[66:67]
	s_waitcnt vmcnt(8)
	v_mul_f64 v[46:47], v[30:31], v[70:71]
	;; [unrolled: 2-line block ×4, first 2 shown]
	v_mul_f64 v[78:79], v[32:33], v[78:79]
	s_waitcnt vmcnt(4)
	v_mul_f64 v[52:53], v[38:39], v[86:87]
	v_mul_f64 v[86:87], v[36:37], v[86:87]
	s_waitcnt vmcnt(3)
	v_mul_f64 v[60:61], v[14:15], v[90:91]
	s_waitcnt vmcnt(1)
	;; [unrolled: 2-line block ×3, first 2 shown]
	v_mul_f64 v[58:59], v[2:3], v[102:103]
	v_mul_f64 v[54:55], v[42:43], v[94:95]
	;; [unrolled: 1-line block ×4, first 2 shown]
	v_fmac_f64_e32 v[62:63], v[8:9], v[96:97]
	v_fmac_f64_e32 v[58:59], v[0:1], v[100:101]
	v_mul_f64 v[0:1], v[0:1], v[102:103]
	v_mul_f64 v[66:67], v[24:25], v[66:67]
	v_mul_f64 v[70:71], v[28:29], v[70:71]
	v_mul_f64 v[74:75], v[20:21], v[74:75]
	v_mul_f64 v[56:57], v[18:19], v[82:83]
	v_mul_f64 v[94:95], v[40:41], v[94:95]
	v_fmac_f64_e32 v[46:47], v[28:29], v[68:69]
	v_fmac_f64_e32 v[50:51], v[20:21], v[72:73]
	v_fma_f64 v[20:21], v[34:35], v[76:77], -v[78:79]
	v_fmac_f64_e32 v[52:53], v[36:37], v[84:85]
	v_fma_f64 v[28:29], v[38:39], v[84:85], -v[86:87]
	v_fmac_f64_e32 v[60:61], v[12:13], v[88:89]
	v_fmac_f64_e32 v[54:55], v[40:41], v[92:93]
	v_fma_f64 v[34:35], v[14:15], v[88:89], -v[90:91]
	v_fma_f64 v[36:37], v[10:11], v[96:97], -v[98:99]
	v_add_f64 v[88:89], v[62:63], -v[58:59]
	v_fma_f64 v[38:39], v[2:3], v[100:101], -v[0:1]
	v_mul_f64 v[82:83], v[16:17], v[82:83]
	v_fmac_f64_e32 v[44:45], v[24:25], v[64:65]
	v_fma_f64 v[24:25], v[26:27], v[64:65], -v[66:67]
	v_fma_f64 v[26:27], v[30:31], v[68:69], -v[70:71]
	v_fmac_f64_e32 v[56:57], v[16:17], v[80:81]
	v_fma_f64 v[30:31], v[42:43], v[92:93], -v[94:95]
	v_add_f64 v[86:87], v[60:61], -v[54:55]
	v_mul_f64 v[16:17], v[88:89], s[22:23]
	v_add_f64 v[68:69], v[36:37], v[38:39]
	v_fmac_f64_e32 v[48:49], v[32:33], v[76:77]
	v_fma_f64 v[32:33], v[18:19], v[80:81], -v[82:83]
	v_add_f64 v[84:85], v[56:57], -v[52:53]
	v_add_f64 v[66:67], v[34:35], v[30:31]
	v_mul_f64 v[14:15], v[86:87], s[26:27]
	v_fma_f64 v[0:1], s[24:25], v[68:69], v[16:17]
	v_fma_f64 v[16:17], v[68:69], s[24:25], -v[16:17]
	v_fma_f64 v[22:23], v[22:23], v[72:73], -v[74:75]
	v_add_f64 v[82:83], v[50:51], -v[48:49]
	v_add_f64 v[64:65], v[32:33], v[28:29]
	v_mul_f64 v[12:13], v[84:85], s[20:21]
	v_fma_f64 v[74:75], s[18:19], v[66:67], v[14:15]
	v_fma_f64 v[14:15], v[66:67], s[18:19], -v[14:15]
	v_add_f64 v[16:17], v[6:7], v[16:17]
	v_add_f64 v[80:81], v[44:45], -v[46:47]
	v_add_f64 v[42:43], v[22:23], v[20:21]
	v_mul_f64 v[10:11], v[82:83], s[14:15]
	v_fma_f64 v[72:73], s[16:17], v[64:65], v[12:13]
	v_add_f64 v[98:99], v[36:37], -v[38:39]
	v_fma_f64 v[12:13], v[64:65], s[16:17], -v[12:13]
	v_add_f64 v[14:15], v[14:15], v[16:17]
	v_add_f64 v[40:41], v[24:25], v[26:27]
	v_mul_f64 v[8:9], v[80:81], s[10:11]
	v_fma_f64 v[70:71], s[12:13], v[42:43], v[10:11]
	v_add_f64 v[0:1], v[6:7], v[0:1]
	v_add_f64 v[96:97], v[34:35], -v[30:31]
	v_add_f64 v[78:79], v[62:63], v[58:59]
	v_mul_f64 v[112:113], v[98:99], s[22:23]
	v_fma_f64 v[10:11], v[42:43], s[12:13], -v[10:11]
	v_add_f64 v[12:13], v[12:13], v[14:15]
	v_fma_f64 v[18:19], s[8:9], v[40:41], v[8:9]
	v_add_f64 v[0:1], v[74:75], v[0:1]
	v_add_f64 v[94:95], v[32:33], -v[28:29]
	v_add_f64 v[76:77], v[60:61], v[54:55]
	v_mul_f64 v[108:109], v[96:97], s[26:27]
	v_fma_f64 v[114:115], v[78:79], s[24:25], -v[112:113]
	v_fma_f64 v[8:9], v[40:41], s[8:9], -v[8:9]
	v_add_f64 v[10:11], v[10:11], v[12:13]
	v_fmac_f64_e32 v[112:113], s[24:25], v[78:79]
	v_add_f64 v[0:1], v[72:73], v[0:1]
	v_add_f64 v[92:93], v[22:23], -v[20:21]
	v_add_f64 v[74:75], v[56:57], v[52:53]
	v_mul_f64 v[104:105], v[94:95], s[20:21]
	v_fma_f64 v[110:111], v[76:77], s[18:19], -v[108:109]
	v_add_f64 v[114:115], v[4:5], v[114:115]
	v_add_f64 v[10:11], v[8:9], v[10:11]
	v_fmac_f64_e32 v[108:109], s[18:19], v[76:77]
	v_add_f64 v[8:9], v[4:5], v[112:113]
	v_add_f64 v[0:1], v[70:71], v[0:1]
	v_add_f64 v[90:91], v[24:25], -v[26:27]
	v_add_f64 v[72:73], v[50:51], v[48:49]
	v_mul_f64 v[100:101], v[92:93], s[14:15]
	v_fma_f64 v[106:107], v[74:75], s[16:17], -v[104:105]
	v_add_f64 v[110:111], v[110:111], v[114:115]
	v_fmac_f64_e32 v[104:105], s[16:17], v[74:75]
	v_add_f64 v[8:9], v[108:109], v[8:9]
	v_mul_f64 v[108:109], v[88:89], s[20:21]
	v_add_f64 v[2:3], v[18:19], v[0:1]
	v_add_f64 v[70:71], v[44:45], v[46:47]
	v_mul_f64 v[18:19], v[90:91], s[10:11]
	v_fma_f64 v[102:103], v[72:73], s[12:13], -v[100:101]
	v_add_f64 v[106:107], v[106:107], v[110:111]
	v_fmac_f64_e32 v[100:101], s[12:13], v[72:73]
	v_add_f64 v[8:9], v[104:105], v[8:9]
	v_mul_f64 v[104:105], v[86:87], s[30:31]
	v_fma_f64 v[110:111], s[16:17], v[68:69], v[108:109]
	v_fma_f64 v[108:109], v[68:69], s[16:17], -v[108:109]
	v_fma_f64 v[0:1], v[70:71], s[8:9], -v[18:19]
	v_add_f64 v[102:103], v[102:103], v[106:107]
	v_fmac_f64_e32 v[18:19], s[8:9], v[70:71]
	v_add_f64 v[8:9], v[100:101], v[8:9]
	v_mul_f64 v[100:101], v[84:85], s[28:29]
	v_fma_f64 v[106:107], s[8:9], v[66:67], v[104:105]
	v_fma_f64 v[104:105], v[66:67], s[8:9], -v[104:105]
	v_add_f64 v[108:109], v[6:7], v[108:109]
	v_add_f64 v[0:1], v[0:1], v[102:103]
	;; [unrolled: 1-line block ×3, first 2 shown]
	v_mul_f64 v[18:19], v[82:83], s[22:23]
	v_fma_f64 v[102:103], s[18:19], v[64:65], v[100:101]
	v_fma_f64 v[100:101], v[64:65], s[18:19], -v[100:101]
	v_add_f64 v[104:105], v[104:105], v[108:109]
	v_mul_f64 v[16:17], v[80:81], s[14:15]
	v_fma_f64 v[14:15], s[24:25], v[42:43], v[18:19]
	v_mul_f64 v[126:127], v[98:99], s[20:21]
	v_fma_f64 v[18:19], v[42:43], s[24:25], -v[18:19]
	v_add_f64 v[100:101], v[100:101], v[104:105]
	v_fma_f64 v[12:13], s[12:13], v[40:41], v[16:17]
	v_add_f64 v[110:111], v[6:7], v[110:111]
	v_mul_f64 v[116:117], v[96:97], s[30:31]
	v_fma_f64 v[128:129], v[78:79], s[16:17], -v[126:127]
	v_fma_f64 v[16:17], v[40:41], s[12:13], -v[16:17]
	v_add_f64 v[18:19], v[18:19], v[100:101]
	v_fmac_f64_e32 v[126:127], s[16:17], v[78:79]
	v_add_f64 v[106:107], v[106:107], v[110:111]
	v_mul_f64 v[112:113], v[94:95], s[28:29]
	v_fma_f64 v[118:119], v[76:77], s[8:9], -v[116:117]
	v_add_f64 v[128:129], v[4:5], v[128:129]
	v_add_f64 v[18:19], v[16:17], v[18:19]
	v_fmac_f64_e32 v[116:117], s[8:9], v[76:77]
	v_add_f64 v[16:17], v[4:5], v[126:127]
	v_add_f64 v[102:103], v[102:103], v[106:107]
	v_mul_f64 v[106:107], v[92:93], s[22:23]
	v_fma_f64 v[114:115], v[74:75], s[18:19], -v[112:113]
	v_add_f64 v[118:119], v[118:119], v[128:129]
	v_fmac_f64_e32 v[112:113], s[18:19], v[74:75]
	v_add_f64 v[16:17], v[116:117], v[16:17]
	v_mul_f64 v[116:117], v[88:89], s[10:11]
	v_add_f64 v[14:15], v[14:15], v[102:103]
	v_mul_f64 v[102:103], v[90:91], s[14:15]
	v_fma_f64 v[110:111], v[72:73], s[24:25], -v[106:107]
	v_add_f64 v[114:115], v[114:115], v[118:119]
	v_add_f64 v[16:17], v[112:113], v[16:17]
	v_mul_f64 v[112:113], v[86:87], s[34:35]
	v_fma_f64 v[118:119], s[8:9], v[68:69], v[116:117]
	v_fma_f64 v[116:117], v[68:69], s[8:9], -v[116:117]
	v_add_f64 v[14:15], v[12:13], v[14:15]
	v_fma_f64 v[12:13], v[70:71], s[12:13], -v[102:103]
	v_add_f64 v[110:111], v[110:111], v[114:115]
	v_fmac_f64_e32 v[106:107], s[24:25], v[72:73]
	v_mul_f64 v[108:109], v[84:85], s[14:15]
	v_fma_f64 v[114:115], s[24:25], v[66:67], v[112:113]
	v_fma_f64 v[112:113], v[66:67], s[24:25], -v[112:113]
	v_add_f64 v[116:117], v[6:7], v[116:117]
	v_add_f64 v[12:13], v[12:13], v[110:111]
	v_fmac_f64_e32 v[102:103], s[12:13], v[70:71]
	v_add_f64 v[16:17], v[106:107], v[16:17]
	v_mul_f64 v[106:107], v[82:83], s[28:29]
	v_fma_f64 v[110:111], s[12:13], v[64:65], v[108:109]
	v_fma_f64 v[108:109], v[64:65], s[12:13], -v[108:109]
	v_add_f64 v[112:113], v[112:113], v[116:117]
	v_add_f64 v[16:17], v[102:103], v[16:17]
	v_mul_f64 v[104:105], v[80:81], s[20:21]
	v_fma_f64 v[102:103], s[18:19], v[42:43], v[106:107]
	v_mul_f64 v[134:135], v[98:99], s[10:11]
	v_fma_f64 v[106:107], v[42:43], s[18:19], -v[106:107]
	v_add_f64 v[108:109], v[108:109], v[112:113]
	v_fma_f64 v[100:101], s[16:17], v[40:41], v[104:105]
	v_add_f64 v[118:119], v[6:7], v[118:119]
	v_mul_f64 v[130:131], v[96:97], s[34:35]
	v_fma_f64 v[136:137], v[78:79], s[8:9], -v[134:135]
	v_fma_f64 v[104:105], v[40:41], s[16:17], -v[104:105]
	v_add_f64 v[106:107], v[106:107], v[108:109]
	v_fmac_f64_e32 v[134:135], s[8:9], v[78:79]
	v_add_f64 v[114:115], v[114:115], v[118:119]
	v_mul_f64 v[126:127], v[94:95], s[14:15]
	v_fma_f64 v[132:133], v[76:77], s[24:25], -v[130:131]
	v_add_f64 v[136:137], v[4:5], v[136:137]
	v_add_f64 v[106:107], v[104:105], v[106:107]
	v_fmac_f64_e32 v[130:131], s[24:25], v[76:77]
	v_add_f64 v[104:105], v[4:5], v[134:135]
	s_mov_b32 s15, 0xbfed1bb4
	v_add_f64 v[110:111], v[110:111], v[114:115]
	v_mul_f64 v[114:115], v[92:93], s[28:29]
	v_fma_f64 v[128:129], v[74:75], s[12:13], -v[126:127]
	v_add_f64 v[132:133], v[132:133], v[136:137]
	v_fmac_f64_e32 v[126:127], s[12:13], v[74:75]
	v_add_f64 v[104:105], v[130:131], v[104:105]
	v_mul_f64 v[130:131], v[88:89], s[14:15]
	v_add_f64 v[102:103], v[102:103], v[110:111]
	v_mul_f64 v[110:111], v[90:91], s[20:21]
	v_fma_f64 v[118:119], v[72:73], s[18:19], -v[114:115]
	v_add_f64 v[128:129], v[128:129], v[132:133]
	v_add_f64 v[104:105], v[126:127], v[104:105]
	v_mul_f64 v[126:127], v[86:87], s[20:21]
	v_fma_f64 v[132:133], s[12:13], v[68:69], v[130:131]
	v_fma_f64 v[130:131], v[68:69], s[12:13], -v[130:131]
	v_add_f64 v[102:103], v[100:101], v[102:103]
	v_fma_f64 v[100:101], v[70:71], s[16:17], -v[110:111]
	v_add_f64 v[118:119], v[118:119], v[128:129]
	v_fmac_f64_e32 v[114:115], s[18:19], v[72:73]
	v_mul_f64 v[116:117], v[84:85], s[34:35]
	v_fma_f64 v[128:129], s[16:17], v[66:67], v[126:127]
	v_fma_f64 v[126:127], v[66:67], s[16:17], -v[126:127]
	v_add_f64 v[130:131], v[6:7], v[130:131]
	v_add_f64 v[100:101], v[100:101], v[118:119]
	v_fmac_f64_e32 v[110:111], s[16:17], v[70:71]
	v_add_f64 v[104:105], v[114:115], v[104:105]
	v_mul_f64 v[114:115], v[82:83], s[30:31]
	v_fma_f64 v[118:119], s[24:25], v[64:65], v[116:117]
	v_fma_f64 v[116:117], v[64:65], s[24:25], -v[116:117]
	v_add_f64 v[126:127], v[126:127], v[130:131]
	v_add_f64 v[104:105], v[110:111], v[104:105]
	v_mul_f64 v[112:113], v[80:81], s[26:27]
	v_fma_f64 v[110:111], s[8:9], v[42:43], v[114:115]
	v_mul_f64 v[142:143], v[98:99], s[14:15]
	v_fma_f64 v[114:115], v[42:43], s[8:9], -v[114:115]
	v_add_f64 v[116:117], v[116:117], v[126:127]
	v_fma_f64 v[108:109], s[18:19], v[40:41], v[112:113]
	v_add_f64 v[132:133], v[6:7], v[132:133]
	v_mul_f64 v[138:139], v[96:97], s[20:21]
	v_fma_f64 v[144:145], v[78:79], s[12:13], -v[142:143]
	v_fma_f64 v[112:113], v[40:41], s[18:19], -v[112:113]
	v_add_f64 v[114:115], v[114:115], v[116:117]
	v_fmac_f64_e32 v[142:143], s[12:13], v[78:79]
	v_add_f64 v[128:129], v[128:129], v[132:133]
	v_mul_f64 v[134:135], v[94:95], s[34:35]
	v_fma_f64 v[140:141], v[76:77], s[16:17], -v[138:139]
	v_add_f64 v[114:115], v[112:113], v[114:115]
	v_fmac_f64_e32 v[138:139], s[16:17], v[76:77]
	v_add_f64 v[112:113], v[4:5], v[142:143]
	v_add_f64 v[118:119], v[118:119], v[128:129]
	v_mul_f64 v[128:129], v[92:93], s[30:31]
	v_fma_f64 v[136:137], v[74:75], s[24:25], -v[134:135]
	v_fmac_f64_e32 v[134:135], s[24:25], v[74:75]
	v_add_f64 v[112:113], v[138:139], v[112:113]
	v_mul_f64 v[88:89], v[88:89], s[28:29]
	v_add_f64 v[110:111], v[110:111], v[118:119]
	v_mul_f64 v[118:119], v[90:91], s[26:27]
	v_fma_f64 v[132:133], v[72:73], s[8:9], -v[128:129]
	v_add_f64 v[144:145], v[4:5], v[144:145]
	v_fmac_f64_e32 v[128:129], s[8:9], v[72:73]
	v_add_f64 v[112:113], v[134:135], v[112:113]
	v_mul_f64 v[86:87], v[86:87], s[14:15]
	v_fma_f64 v[130:131], s[18:19], v[68:69], v[88:89]
	v_fma_f64 v[68:69], v[68:69], s[18:19], -v[88:89]
	v_add_f64 v[110:111], v[108:109], v[110:111]
	v_fma_f64 v[108:109], v[70:71], s[18:19], -v[118:119]
	v_add_f64 v[140:141], v[140:141], v[144:145]
	v_fmac_f64_e32 v[118:119], s[18:19], v[70:71]
	v_add_f64 v[112:113], v[128:129], v[112:113]
	v_mul_f64 v[84:85], v[84:85], s[10:11]
	v_fma_f64 v[128:129], s[12:13], v[66:67], v[86:87]
	v_fma_f64 v[66:67], v[66:67], s[12:13], -v[86:87]
	v_add_f64 v[68:69], v[6:7], v[68:69]
	v_add_f64 v[136:137], v[136:137], v[140:141]
	;; [unrolled: 1-line block ×3, first 2 shown]
	v_mul_f64 v[118:119], v[82:83], s[20:21]
	v_fma_f64 v[126:127], s[8:9], v[64:65], v[84:85]
	v_fma_f64 v[64:65], v[64:65], s[8:9], -v[84:85]
	v_add_f64 v[66:67], v[66:67], v[68:69]
	v_add_f64 v[132:133], v[132:133], v[136:137]
	v_mul_f64 v[116:117], v[80:81], s[22:23]
	v_fma_f64 v[82:83], s[16:17], v[42:43], v[118:119]
	v_mul_f64 v[98:99], v[98:99], s[28:29]
	v_fma_f64 v[42:43], v[42:43], s[16:17], -v[118:119]
	v_add_f64 v[64:65], v[64:65], v[66:67]
	v_add_f64 v[108:109], v[108:109], v[132:133]
	v_fma_f64 v[80:81], s[24:25], v[40:41], v[116:117]
	v_fma_f64 v[132:133], v[78:79], s[18:19], -v[98:99]
	v_fma_f64 v[40:41], v[40:41], s[24:25], -v[116:117]
	v_add_f64 v[42:43], v[42:43], v[64:65]
	v_fmac_f64_e32 v[98:99], s[18:19], v[78:79]
	v_add_f64 v[130:131], v[6:7], v[130:131]
	v_add_f64 v[132:133], v[4:5], v[132:133]
	;; [unrolled: 1-line block ×14, first 2 shown]
	v_mul_f64 v[96:97], v[96:97], s[14:15]
	v_add_f64 v[6:7], v[6:7], v[26:27]
	v_add_f64 v[4:5], v[4:5], v[46:47]
	;; [unrolled: 1-line block ×3, first 2 shown]
	v_mul_f64 v[94:95], v[94:95], s[10:11]
	v_fma_f64 v[130:131], v[76:77], s[12:13], -v[96:97]
	v_fmac_f64_e32 v[96:97], s[12:13], v[76:77]
	v_add_f64 v[6:7], v[6:7], v[20:21]
	v_add_f64 v[4:5], v[4:5], v[48:49]
	;; [unrolled: 1-line block ×3, first 2 shown]
	v_mul_f64 v[92:93], v[92:93], s[20:21]
	v_fma_f64 v[128:129], v[74:75], s[8:9], -v[94:95]
	v_add_f64 v[130:131], v[130:131], v[132:133]
	v_fmac_f64_e32 v[94:95], s[8:9], v[74:75]
	v_add_f64 v[40:41], v[96:97], v[40:41]
	v_add_f64 v[6:7], v[6:7], v[28:29]
	;; [unrolled: 1-line block ×4, first 2 shown]
	v_mul_f64 v[90:91], v[90:91], s[22:23]
	v_fma_f64 v[126:127], v[72:73], s[16:17], -v[92:93]
	v_add_f64 v[128:129], v[128:129], v[130:131]
	v_fmac_f64_e32 v[92:93], s[16:17], v[72:73]
	v_add_f64 v[40:41], v[94:95], v[40:41]
	v_add_f64 v[6:7], v[6:7], v[30:31]
	;; [unrolled: 1-line block ×4, first 2 shown]
	v_fma_f64 v[80:81], v[70:71], s[24:25], -v[90:91]
	v_add_f64 v[126:127], v[126:127], v[128:129]
	v_fmac_f64_e32 v[90:91], s[24:25], v[70:71]
	v_add_f64 v[40:41], v[92:93], v[40:41]
	v_add_f64 v[6:7], v[6:7], v[38:39]
	;; [unrolled: 1-line block ×5, first 2 shown]
	ds_write_b128 v190, v[4:7]
	ds_write_b128 v190, v[40:43] offset:2720
	ds_write_b128 v190, v[112:115] offset:5440
	;; [unrolled: 1-line block ×10, first 2 shown]
.LBB0_25:
	s_or_b64 exec, exec, s[4:5]
	s_waitcnt lgkmcnt(0)
	s_barrier
	s_and_saveexec_b64 s[4:5], s[0:1]
	s_cbranch_execz .LBB0_27
; %bb.26:
	v_mul_lo_u32 v0, s3, v122
	v_mul_lo_u32 v1, s2, v123
	v_mad_u64_u32 v[4:5], s[0:1], s2, v122, 0
	v_lshl_add_u32 v12, v124, 4, 0
	v_add3_u32 v5, v5, v1, v0
	ds_read_b128 v[0:3], v12
	v_lshl_add_u64 v[4:5], v[4:5], 4, s[6:7]
	v_lshl_add_u64 v[8:9], v[120:121], 4, v[4:5]
	ds_read_b128 v[4:7], v12 offset:2992
	v_mov_b32_e32 v125, 0
	v_lshl_add_u64 v[10:11], v[124:125], 4, v[8:9]
	s_waitcnt lgkmcnt(1)
	global_store_dwordx4 v[10:11], v[0:3], off
	s_nop 1
	v_add_u32_e32 v0, 0xbb, v124
	v_mov_b32_e32 v1, v125
	v_lshl_add_u64 v[0:1], v[0:1], 4, v[8:9]
	s_waitcnt lgkmcnt(0)
	global_store_dwordx4 v[0:1], v[4:7], off
	ds_read_b128 v[0:3], v12 offset:5984
	s_nop 0
	v_add_u32_e32 v4, 0x176, v124
	v_mov_b32_e32 v5, v125
	v_lshl_add_u64 v[10:11], v[4:5], 4, v[8:9]
	ds_read_b128 v[4:7], v12 offset:8976
	s_waitcnt lgkmcnt(1)
	global_store_dwordx4 v[10:11], v[0:3], off
	s_nop 1
	v_add_u32_e32 v0, 0x231, v124
	v_mov_b32_e32 v1, v125
	v_lshl_add_u64 v[0:1], v[0:1], 4, v[8:9]
	s_waitcnt lgkmcnt(0)
	global_store_dwordx4 v[0:1], v[4:7], off
	ds_read_b128 v[0:3], v12 offset:11968
	s_nop 0
	v_add_u32_e32 v4, 0x2ec, v124
	v_mov_b32_e32 v5, v125
	v_lshl_add_u64 v[10:11], v[4:5], 4, v[8:9]
	ds_read_b128 v[4:7], v12 offset:14960
	;; [unrolled: 14-line block ×3, first 2 shown]
	s_waitcnt lgkmcnt(1)
	global_store_dwordx4 v[10:11], v[0:3], off
	v_add_u32_e32 v10, 0x5d8, v124
	v_mov_b32_e32 v11, v125
	v_add_u32_e32 v0, 0x51d, v124
	v_mov_b32_e32 v1, v125
	v_lshl_add_u64 v[0:1], v[0:1], 4, v[8:9]
	s_waitcnt lgkmcnt(0)
	global_store_dwordx4 v[0:1], v[4:7], off
	ds_read_b128 v[0:3], v12 offset:23936
	ds_read_b128 v[4:7], v12 offset:26928
	v_lshl_add_u64 v[10:11], v[10:11], 4, v[8:9]
	v_add_u32_e32 v124, 0x693, v124
	s_waitcnt lgkmcnt(1)
	global_store_dwordx4 v[10:11], v[0:3], off
	s_nop 1
	v_lshl_add_u64 v[0:1], v[124:125], 4, v[8:9]
	s_waitcnt lgkmcnt(0)
	global_store_dwordx4 v[0:1], v[4:7], off
.LBB0_27:
	s_endpgm
	.section	.rodata,"a",@progbits
	.p2align	6, 0x0
	.amdhsa_kernel fft_rtc_back_len1870_factors_17_10_11_wgs_187_tpt_187_halfLds_dp_op_CI_CI_unitstride_sbrr_C2R_dirReg
		.amdhsa_group_segment_fixed_size 0
		.amdhsa_private_segment_fixed_size 0
		.amdhsa_kernarg_size 104
		.amdhsa_user_sgpr_count 2
		.amdhsa_user_sgpr_dispatch_ptr 0
		.amdhsa_user_sgpr_queue_ptr 0
		.amdhsa_user_sgpr_kernarg_segment_ptr 1
		.amdhsa_user_sgpr_dispatch_id 0
		.amdhsa_user_sgpr_kernarg_preload_length 0
		.amdhsa_user_sgpr_kernarg_preload_offset 0
		.amdhsa_user_sgpr_private_segment_size 0
		.amdhsa_uses_dynamic_stack 0
		.amdhsa_enable_private_segment 0
		.amdhsa_system_sgpr_workgroup_id_x 1
		.amdhsa_system_sgpr_workgroup_id_y 0
		.amdhsa_system_sgpr_workgroup_id_z 0
		.amdhsa_system_sgpr_workgroup_info 0
		.amdhsa_system_vgpr_workitem_id 0
		.amdhsa_next_free_vgpr 254
		.amdhsa_next_free_sgpr 58
		.amdhsa_accum_offset 256
		.amdhsa_reserve_vcc 1
		.amdhsa_float_round_mode_32 0
		.amdhsa_float_round_mode_16_64 0
		.amdhsa_float_denorm_mode_32 3
		.amdhsa_float_denorm_mode_16_64 3
		.amdhsa_dx10_clamp 1
		.amdhsa_ieee_mode 1
		.amdhsa_fp16_overflow 0
		.amdhsa_tg_split 0
		.amdhsa_exception_fp_ieee_invalid_op 0
		.amdhsa_exception_fp_denorm_src 0
		.amdhsa_exception_fp_ieee_div_zero 0
		.amdhsa_exception_fp_ieee_overflow 0
		.amdhsa_exception_fp_ieee_underflow 0
		.amdhsa_exception_fp_ieee_inexact 0
		.amdhsa_exception_int_div_zero 0
	.end_amdhsa_kernel
	.text
.Lfunc_end0:
	.size	fft_rtc_back_len1870_factors_17_10_11_wgs_187_tpt_187_halfLds_dp_op_CI_CI_unitstride_sbrr_C2R_dirReg, .Lfunc_end0-fft_rtc_back_len1870_factors_17_10_11_wgs_187_tpt_187_halfLds_dp_op_CI_CI_unitstride_sbrr_C2R_dirReg
                                        ; -- End function
	.section	.AMDGPU.csdata,"",@progbits
; Kernel info:
; codeLenInByte = 14056
; NumSgprs: 64
; NumVgprs: 254
; NumAgprs: 0
; TotalNumVgprs: 254
; ScratchSize: 0
; MemoryBound: 0
; FloatMode: 240
; IeeeMode: 1
; LDSByteSize: 0 bytes/workgroup (compile time only)
; SGPRBlocks: 7
; VGPRBlocks: 31
; NumSGPRsForWavesPerEU: 64
; NumVGPRsForWavesPerEU: 254
; AccumOffset: 256
; Occupancy: 2
; WaveLimiterHint : 1
; COMPUTE_PGM_RSRC2:SCRATCH_EN: 0
; COMPUTE_PGM_RSRC2:USER_SGPR: 2
; COMPUTE_PGM_RSRC2:TRAP_HANDLER: 0
; COMPUTE_PGM_RSRC2:TGID_X_EN: 1
; COMPUTE_PGM_RSRC2:TGID_Y_EN: 0
; COMPUTE_PGM_RSRC2:TGID_Z_EN: 0
; COMPUTE_PGM_RSRC2:TIDIG_COMP_CNT: 0
; COMPUTE_PGM_RSRC3_GFX90A:ACCUM_OFFSET: 63
; COMPUTE_PGM_RSRC3_GFX90A:TG_SPLIT: 0
	.text
	.p2alignl 6, 3212836864
	.fill 256, 4, 3212836864
	.type	__hip_cuid_7d57534c9d0a4ce6,@object ; @__hip_cuid_7d57534c9d0a4ce6
	.section	.bss,"aw",@nobits
	.globl	__hip_cuid_7d57534c9d0a4ce6
__hip_cuid_7d57534c9d0a4ce6:
	.byte	0                               ; 0x0
	.size	__hip_cuid_7d57534c9d0a4ce6, 1

	.ident	"AMD clang version 19.0.0git (https://github.com/RadeonOpenCompute/llvm-project roc-6.4.0 25133 c7fe45cf4b819c5991fe208aaa96edf142730f1d)"
	.section	".note.GNU-stack","",@progbits
	.addrsig
	.addrsig_sym __hip_cuid_7d57534c9d0a4ce6
	.amdgpu_metadata
---
amdhsa.kernels:
  - .agpr_count:     0
    .args:
      - .actual_access:  read_only
        .address_space:  global
        .offset:         0
        .size:           8
        .value_kind:     global_buffer
      - .offset:         8
        .size:           8
        .value_kind:     by_value
      - .actual_access:  read_only
        .address_space:  global
        .offset:         16
        .size:           8
        .value_kind:     global_buffer
      - .actual_access:  read_only
        .address_space:  global
        .offset:         24
        .size:           8
        .value_kind:     global_buffer
      - .actual_access:  read_only
        .address_space:  global
        .offset:         32
        .size:           8
        .value_kind:     global_buffer
      - .offset:         40
        .size:           8
        .value_kind:     by_value
      - .actual_access:  read_only
        .address_space:  global
        .offset:         48
        .size:           8
        .value_kind:     global_buffer
      - .actual_access:  read_only
        .address_space:  global
        .offset:         56
        .size:           8
        .value_kind:     global_buffer
      - .offset:         64
        .size:           4
        .value_kind:     by_value
      - .actual_access:  read_only
        .address_space:  global
        .offset:         72
        .size:           8
        .value_kind:     global_buffer
      - .actual_access:  read_only
        .address_space:  global
        .offset:         80
        .size:           8
        .value_kind:     global_buffer
      - .actual_access:  read_only
        .address_space:  global
        .offset:         88
        .size:           8
        .value_kind:     global_buffer
      - .actual_access:  write_only
        .address_space:  global
        .offset:         96
        .size:           8
        .value_kind:     global_buffer
    .group_segment_fixed_size: 0
    .kernarg_segment_align: 8
    .kernarg_segment_size: 104
    .language:       OpenCL C
    .language_version:
      - 2
      - 0
    .max_flat_workgroup_size: 187
    .name:           fft_rtc_back_len1870_factors_17_10_11_wgs_187_tpt_187_halfLds_dp_op_CI_CI_unitstride_sbrr_C2R_dirReg
    .private_segment_fixed_size: 0
    .sgpr_count:     64
    .sgpr_spill_count: 0
    .symbol:         fft_rtc_back_len1870_factors_17_10_11_wgs_187_tpt_187_halfLds_dp_op_CI_CI_unitstride_sbrr_C2R_dirReg.kd
    .uniform_work_group_size: 1
    .uses_dynamic_stack: false
    .vgpr_count:     254
    .vgpr_spill_count: 0
    .wavefront_size: 64
amdhsa.target:   amdgcn-amd-amdhsa--gfx950
amdhsa.version:
  - 1
  - 2
...

	.end_amdgpu_metadata
